;; amdgpu-corpus repo=ROCm/rocFFT kind=compiled arch=gfx906 opt=O3
	.text
	.amdgcn_target "amdgcn-amd-amdhsa--gfx906"
	.amdhsa_code_object_version 6
	.protected	fft_rtc_back_len1260_factors_2_2_3_3_5_7_wgs_63_tpt_63_halfLds_half_op_CI_CI_unitstride_sbrr_dirReg ; -- Begin function fft_rtc_back_len1260_factors_2_2_3_3_5_7_wgs_63_tpt_63_halfLds_half_op_CI_CI_unitstride_sbrr_dirReg
	.globl	fft_rtc_back_len1260_factors_2_2_3_3_5_7_wgs_63_tpt_63_halfLds_half_op_CI_CI_unitstride_sbrr_dirReg
	.p2align	8
	.type	fft_rtc_back_len1260_factors_2_2_3_3_5_7_wgs_63_tpt_63_halfLds_half_op_CI_CI_unitstride_sbrr_dirReg,@function
fft_rtc_back_len1260_factors_2_2_3_3_5_7_wgs_63_tpt_63_halfLds_half_op_CI_CI_unitstride_sbrr_dirReg: ; @fft_rtc_back_len1260_factors_2_2_3_3_5_7_wgs_63_tpt_63_halfLds_half_op_CI_CI_unitstride_sbrr_dirReg
; %bb.0:
	s_load_dwordx4 s[12:15], s[4:5], 0x58
	s_load_dwordx4 s[8:11], s[4:5], 0x0
	;; [unrolled: 1-line block ×3, first 2 shown]
	v_mul_u32_u24_e32 v1, 0x411, v0
	v_mov_b32_e32 v7, 0
	v_mov_b32_e32 v5, 0
	s_waitcnt lgkmcnt(0)
	v_cmp_lt_u64_e64 s[0:1], s[10:11], 2
	v_add_u32_sdwa v9, s6, v1 dst_sel:DWORD dst_unused:UNUSED_PAD src0_sel:DWORD src1_sel:WORD_1
	v_mov_b32_e32 v10, v7
	s_and_b64 vcc, exec, s[0:1]
	v_mov_b32_e32 v6, 0
	s_cbranch_vccnz .LBB0_8
; %bb.1:
	s_load_dwordx2 s[0:1], s[4:5], 0x10
	s_add_u32 s2, s18, 8
	s_addc_u32 s3, s19, 0
	s_add_u32 s6, s16, 8
	s_addc_u32 s7, s17, 0
	v_mov_b32_e32 v5, 0
	s_waitcnt lgkmcnt(0)
	s_add_u32 s20, s0, 8
	v_mov_b32_e32 v6, 0
	v_mov_b32_e32 v1, v5
	s_addc_u32 s21, s1, 0
	s_mov_b64 s[22:23], 1
	v_mov_b32_e32 v2, v6
.LBB0_2:                                ; =>This Inner Loop Header: Depth=1
	s_load_dwordx2 s[24:25], s[20:21], 0x0
                                        ; implicit-def: $vgpr3_vgpr4
	s_waitcnt lgkmcnt(0)
	v_or_b32_e32 v8, s25, v10
	v_cmp_ne_u64_e32 vcc, 0, v[7:8]
	s_and_saveexec_b64 s[0:1], vcc
	s_xor_b64 s[26:27], exec, s[0:1]
	s_cbranch_execz .LBB0_4
; %bb.3:                                ;   in Loop: Header=BB0_2 Depth=1
	v_cvt_f32_u32_e32 v3, s24
	v_cvt_f32_u32_e32 v4, s25
	s_sub_u32 s0, 0, s24
	s_subb_u32 s1, 0, s25
	v_mac_f32_e32 v3, 0x4f800000, v4
	v_rcp_f32_e32 v3, v3
	v_mul_f32_e32 v3, 0x5f7ffffc, v3
	v_mul_f32_e32 v4, 0x2f800000, v3
	v_trunc_f32_e32 v4, v4
	v_mac_f32_e32 v3, 0xcf800000, v4
	v_cvt_u32_f32_e32 v4, v4
	v_cvt_u32_f32_e32 v3, v3
	v_mul_lo_u32 v8, s0, v4
	v_mul_hi_u32 v11, s0, v3
	v_mul_lo_u32 v13, s1, v3
	v_mul_lo_u32 v12, s0, v3
	v_add_u32_e32 v8, v11, v8
	v_add_u32_e32 v8, v8, v13
	v_mul_hi_u32 v11, v3, v12
	v_mul_lo_u32 v13, v3, v8
	v_mul_hi_u32 v15, v3, v8
	v_mul_hi_u32 v14, v4, v12
	v_mul_lo_u32 v12, v4, v12
	v_mul_hi_u32 v16, v4, v8
	v_add_co_u32_e32 v11, vcc, v11, v13
	v_addc_co_u32_e32 v13, vcc, 0, v15, vcc
	v_mul_lo_u32 v8, v4, v8
	v_add_co_u32_e32 v11, vcc, v11, v12
	v_addc_co_u32_e32 v11, vcc, v13, v14, vcc
	v_addc_co_u32_e32 v12, vcc, 0, v16, vcc
	v_add_co_u32_e32 v8, vcc, v11, v8
	v_addc_co_u32_e32 v11, vcc, 0, v12, vcc
	v_add_co_u32_e32 v3, vcc, v3, v8
	v_addc_co_u32_e32 v4, vcc, v4, v11, vcc
	v_mul_lo_u32 v8, s0, v4
	v_mul_hi_u32 v11, s0, v3
	v_mul_lo_u32 v12, s1, v3
	v_mul_lo_u32 v13, s0, v3
	v_add_u32_e32 v8, v11, v8
	v_add_u32_e32 v8, v8, v12
	v_mul_lo_u32 v14, v3, v8
	v_mul_hi_u32 v15, v3, v13
	v_mul_hi_u32 v16, v3, v8
	v_mul_hi_u32 v12, v4, v13
	v_mul_lo_u32 v13, v4, v13
	v_mul_hi_u32 v11, v4, v8
	v_add_co_u32_e32 v14, vcc, v15, v14
	v_addc_co_u32_e32 v15, vcc, 0, v16, vcc
	v_mul_lo_u32 v8, v4, v8
	v_add_co_u32_e32 v13, vcc, v14, v13
	v_addc_co_u32_e32 v12, vcc, v15, v12, vcc
	v_addc_co_u32_e32 v11, vcc, 0, v11, vcc
	v_add_co_u32_e32 v8, vcc, v12, v8
	v_addc_co_u32_e32 v11, vcc, 0, v11, vcc
	v_add_co_u32_e32 v8, vcc, v3, v8
	v_addc_co_u32_e32 v11, vcc, v4, v11, vcc
	v_mad_u64_u32 v[3:4], s[0:1], v9, v11, 0
	v_mul_hi_u32 v12, v9, v8
	v_add_co_u32_e32 v13, vcc, v12, v3
	v_addc_co_u32_e32 v14, vcc, 0, v4, vcc
	v_mad_u64_u32 v[3:4], s[0:1], v10, v8, 0
	v_mad_u64_u32 v[11:12], s[0:1], v10, v11, 0
	v_add_co_u32_e32 v3, vcc, v13, v3
	v_addc_co_u32_e32 v3, vcc, v14, v4, vcc
	v_addc_co_u32_e32 v4, vcc, 0, v12, vcc
	v_add_co_u32_e32 v8, vcc, v3, v11
	v_addc_co_u32_e32 v11, vcc, 0, v4, vcc
	v_mul_lo_u32 v12, s25, v8
	v_mul_lo_u32 v13, s24, v11
	v_mad_u64_u32 v[3:4], s[0:1], s24, v8, 0
	v_add3_u32 v4, v4, v13, v12
	v_sub_u32_e32 v12, v10, v4
	v_mov_b32_e32 v13, s25
	v_sub_co_u32_e32 v3, vcc, v9, v3
	v_subb_co_u32_e64 v12, s[0:1], v12, v13, vcc
	v_subrev_co_u32_e64 v13, s[0:1], s24, v3
	v_subbrev_co_u32_e64 v12, s[0:1], 0, v12, s[0:1]
	v_cmp_le_u32_e64 s[0:1], s25, v12
	v_cndmask_b32_e64 v14, 0, -1, s[0:1]
	v_cmp_le_u32_e64 s[0:1], s24, v13
	v_cndmask_b32_e64 v13, 0, -1, s[0:1]
	v_cmp_eq_u32_e64 s[0:1], s25, v12
	v_cndmask_b32_e64 v12, v14, v13, s[0:1]
	v_add_co_u32_e64 v13, s[0:1], 2, v8
	v_addc_co_u32_e64 v14, s[0:1], 0, v11, s[0:1]
	v_add_co_u32_e64 v15, s[0:1], 1, v8
	v_addc_co_u32_e64 v16, s[0:1], 0, v11, s[0:1]
	v_subb_co_u32_e32 v4, vcc, v10, v4, vcc
	v_cmp_ne_u32_e64 s[0:1], 0, v12
	v_cmp_le_u32_e32 vcc, s25, v4
	v_cndmask_b32_e64 v12, v16, v14, s[0:1]
	v_cndmask_b32_e64 v14, 0, -1, vcc
	v_cmp_le_u32_e32 vcc, s24, v3
	v_cndmask_b32_e64 v3, 0, -1, vcc
	v_cmp_eq_u32_e32 vcc, s25, v4
	v_cndmask_b32_e32 v3, v14, v3, vcc
	v_cmp_ne_u32_e32 vcc, 0, v3
	v_cndmask_b32_e64 v3, v15, v13, s[0:1]
	v_cndmask_b32_e32 v4, v11, v12, vcc
	v_cndmask_b32_e32 v3, v8, v3, vcc
.LBB0_4:                                ;   in Loop: Header=BB0_2 Depth=1
	s_andn2_saveexec_b64 s[0:1], s[26:27]
	s_cbranch_execz .LBB0_6
; %bb.5:                                ;   in Loop: Header=BB0_2 Depth=1
	v_cvt_f32_u32_e32 v3, s24
	s_sub_i32 s26, 0, s24
	v_rcp_iflag_f32_e32 v3, v3
	v_mul_f32_e32 v3, 0x4f7ffffe, v3
	v_cvt_u32_f32_e32 v3, v3
	v_mul_lo_u32 v4, s26, v3
	v_mul_hi_u32 v4, v3, v4
	v_add_u32_e32 v3, v3, v4
	v_mul_hi_u32 v3, v9, v3
	v_mul_lo_u32 v4, v3, s24
	v_add_u32_e32 v8, 1, v3
	v_sub_u32_e32 v4, v9, v4
	v_subrev_u32_e32 v11, s24, v4
	v_cmp_le_u32_e32 vcc, s24, v4
	v_cndmask_b32_e32 v4, v4, v11, vcc
	v_cndmask_b32_e32 v3, v3, v8, vcc
	v_add_u32_e32 v8, 1, v3
	v_cmp_le_u32_e32 vcc, s24, v4
	v_cndmask_b32_e32 v3, v3, v8, vcc
	v_mov_b32_e32 v4, v7
.LBB0_6:                                ;   in Loop: Header=BB0_2 Depth=1
	s_or_b64 exec, exec, s[0:1]
	v_mul_lo_u32 v8, v4, s24
	v_mul_lo_u32 v13, v3, s25
	v_mad_u64_u32 v[11:12], s[0:1], v3, s24, 0
	s_load_dwordx2 s[0:1], s[6:7], 0x0
	s_load_dwordx2 s[24:25], s[2:3], 0x0
	v_add3_u32 v8, v12, v13, v8
	v_sub_co_u32_e32 v9, vcc, v9, v11
	v_subb_co_u32_e32 v8, vcc, v10, v8, vcc
	s_waitcnt lgkmcnt(0)
	v_mul_lo_u32 v10, s0, v8
	v_mul_lo_u32 v11, s1, v9
	v_mad_u64_u32 v[5:6], s[0:1], s0, v9, v[5:6]
	v_mul_lo_u32 v8, s24, v8
	v_mul_lo_u32 v12, s25, v9
	v_mad_u64_u32 v[1:2], s[0:1], s24, v9, v[1:2]
	s_add_u32 s22, s22, 1
	s_addc_u32 s23, s23, 0
	s_add_u32 s2, s2, 8
	v_add3_u32 v2, v12, v2, v8
	s_addc_u32 s3, s3, 0
	v_mov_b32_e32 v8, s10
	s_add_u32 s6, s6, 8
	v_mov_b32_e32 v9, s11
	s_addc_u32 s7, s7, 0
	v_cmp_ge_u64_e32 vcc, s[22:23], v[8:9]
	s_add_u32 s20, s20, 8
	v_add3_u32 v6, v11, v6, v10
	s_addc_u32 s21, s21, 0
	s_cbranch_vccnz .LBB0_9
; %bb.7:                                ;   in Loop: Header=BB0_2 Depth=1
	v_mov_b32_e32 v10, v4
	v_mov_b32_e32 v9, v3
	s_branch .LBB0_2
.LBB0_8:
	v_mov_b32_e32 v1, v5
	v_mov_b32_e32 v3, v9
	;; [unrolled: 1-line block ×4, first 2 shown]
.LBB0_9:
	s_load_dwordx2 s[0:1], s[4:5], 0x28
	s_lshl_b64 s[6:7], s[10:11], 3
	s_add_u32 s2, s18, s6
	s_addc_u32 s3, s19, s7
                                        ; implicit-def: $sgpr10
                                        ; implicit-def: $vgpr7
	s_waitcnt lgkmcnt(0)
	v_cmp_gt_u64_e32 vcc, s[0:1], v[3:4]
	v_cmp_le_u64_e64 s[0:1], s[0:1], v[3:4]
	s_and_saveexec_b64 s[4:5], s[0:1]
	s_xor_b64 s[0:1], exec, s[4:5]
; %bb.10:
	s_mov_b32 s4, 0x4104105
	v_mul_hi_u32 v5, v0, s4
	s_mov_b32 s10, 0
	v_mul_u32_u24_e32 v5, 63, v5
	v_sub_u32_e32 v7, v0, v5
                                        ; implicit-def: $vgpr0
                                        ; implicit-def: $vgpr5_vgpr6
; %bb.11:
	s_or_saveexec_b64 s[4:5], s[0:1]
	v_mov_b32_e32 v13, s10
	v_mov_b32_e32 v36, s10
	;; [unrolled: 1-line block ×10, first 2 shown]
                                        ; implicit-def: $vgpr14
                                        ; implicit-def: $vgpr8
                                        ; implicit-def: $vgpr39
                                        ; implicit-def: $vgpr10
                                        ; implicit-def: $vgpr38
                                        ; implicit-def: $vgpr11
                                        ; implicit-def: $vgpr35
                                        ; implicit-def: $vgpr20
                                        ; implicit-def: $vgpr34
                                        ; implicit-def: $vgpr21
                                        ; implicit-def: $vgpr32
                                        ; implicit-def: $vgpr28
                                        ; implicit-def: $vgpr26
                                        ; implicit-def: $vgpr9
                                        ; implicit-def: $vgpr25
                                        ; implicit-def: $vgpr18
                                        ; implicit-def: $vgpr23
                                        ; implicit-def: $vgpr17
                                        ; implicit-def: $vgpr16
                                        ; implicit-def: $vgpr19
	s_xor_b64 exec, exec, s[4:5]
	s_cbranch_execz .LBB0_13
; %bb.12:
	s_add_u32 s0, s16, s6
	s_addc_u32 s1, s17, s7
	s_load_dwordx2 s[0:1], s[0:1], 0x0
	s_mov_b32 s6, 0x4104105
	v_mul_hi_u32 v7, v0, s6
	v_lshlrev_b64 v[5:6], 2, v[5:6]
	s_waitcnt lgkmcnt(0)
	v_mul_lo_u32 v10, s1, v3
	v_mul_lo_u32 v11, s0, v4
	v_mad_u64_u32 v[8:9], s[0:1], s0, v3, 0
	v_mul_u32_u24_e32 v7, 63, v7
	v_sub_u32_e32 v7, v0, v7
	v_add3_u32 v9, v9, v11, v10
	v_lshlrev_b64 v[8:9], 2, v[8:9]
	v_mov_b32_e32 v0, s13
	v_add_co_u32_e64 v8, s[0:1], s12, v8
	v_addc_co_u32_e64 v0, s[0:1], v0, v9, s[0:1]
	v_add_co_u32_e64 v5, s[0:1], v8, v5
	v_addc_co_u32_e64 v0, s[0:1], v0, v6, s[0:1]
	v_lshlrev_b32_e32 v6, 2, v7
	v_add_co_u32_e64 v5, s[0:1], v5, v6
	v_addc_co_u32_e64 v6, s[0:1], 0, v0, s[0:1]
	s_movk_i32 s0, 0x1000
	v_add_co_u32_e64 v25, s[0:1], s0, v5
	global_load_dword v8, v[5:6], off offset:2520
	global_load_dword v10, v[5:6], off offset:2772
	;; [unrolled: 1-line block ×6, first 2 shown]
	global_load_dword v13, v[5:6], off
	global_load_dword v36, v[5:6], off offset:252
	global_load_dword v33, v[5:6], off offset:504
	;; [unrolled: 1-line block ×7, first 2 shown]
	v_addc_co_u32_e64 v26, s[0:1], 0, v6, s[0:1]
	global_load_dword v31, v[5:6], off offset:2016
	global_load_dword v9, v[5:6], off offset:4032
	;; [unrolled: 1-line block ×6, first 2 shown]
	s_waitcnt vmcnt(19)
	v_lshrrev_b32_e32 v14, 16, v8
	s_waitcnt vmcnt(18)
	v_lshrrev_b32_e32 v39, 16, v10
	;; [unrolled: 2-line block ×10, first 2 shown]
.LBB0_13:
	s_or_b64 exec, exec, s[4:5]
	v_sub_f16_e32 v0, v13, v8
	v_fma_f16 v5, v13, 2.0, -v0
	v_sub_f16_e32 v6, v36, v10
	v_pack_b32_f16 v0, v5, v0
	v_lshl_add_u32 v40, v7, 2, 0
	v_fma_f16 v8, v36, 2.0, -v6
	ds_write_b32 v40, v0
	v_add_u32_e32 v0, 63, v7
	v_sub_f16_e32 v10, v33, v11
	v_pack_b32_f16 v5, v8, v6
	v_lshl_add_u32 v41, v0, 2, 0
	v_fma_f16 v11, v33, 2.0, -v10
	v_sub_f16_e32 v20, v27, v20
	ds_write_b32 v41, v5
	v_add_u32_e32 v5, 0x7e, v7
	v_fma_f16 v29, v27, 2.0, -v20
	v_sub_f16_e32 v21, v24, v21
	v_pack_b32_f16 v6, v11, v10
	v_lshl_add_u32 v42, v5, 2, 0
	v_add_u32_e32 v8, 0xbd, v7
	v_fma_f16 v30, v24, 2.0, -v21
	ds_write_b32 v42, v6
	v_pack_b32_f16 v6, v29, v20
	v_lshl_add_u32 v43, v8, 2, 0
	v_add_u32_e32 v11, 0xfc, v7
	v_sub_f16_e32 v28, v12, v28
	ds_write_b32 v43, v6
	v_pack_b32_f16 v6, v30, v21
	v_lshl_add_u32 v44, v11, 2, 0
	ds_write_b32 v44, v6
	v_fma_f16 v6, v12, 2.0, -v28
	v_add_u32_e32 v10, 0x13b, v7
	v_pack_b32_f16 v6, v6, v28
	v_lshl_add_u32 v45, v10, 2, 0
	ds_write_b32 v45, v6
	v_sub_f16_e32 v6, v15, v9
	v_fma_f16 v9, v15, 2.0, -v6
	v_pack_b32_f16 v6, v9, v6
	v_add_u32_e32 v9, 0x17a, v7
	v_lshl_add_u32 v46, v9, 2, 0
	ds_write_b32 v46, v6
	v_sub_f16_e32 v6, v22, v18
	v_fma_f16 v18, v22, 2.0, -v6
	v_add_u32_e32 v48, 0x1b9, v7
	v_pack_b32_f16 v6, v18, v6
	v_lshl_add_u32 v47, v48, 2, 0
	ds_write_b32 v47, v6
	v_sub_f16_e32 v6, v31, v17
	v_fma_f16 v17, v31, 2.0, -v6
	v_add_u32_e32 v50, 0x1f8, v7
	v_pack_b32_f16 v6, v17, v6
	v_lshl_add_u32 v49, v50, 2, 0
	ds_write_b32 v49, v6
	s_waitcnt vmcnt(0)
	v_sub_f16_e32 v6, v37, v19
	v_fma_f16 v17, v37, 2.0, -v6
	v_add_u32_e32 v52, 0x237, v7
	v_pack_b32_f16 v6, v17, v6
	v_lshl_add_u32 v51, v52, 2, 0
	ds_write_b32 v51, v6
	v_lshrrev_b32_e32 v6, 16, v13
	v_lshrrev_b32_e32 v36, 16, v36
	v_sub_f16_e32 v13, v6, v14
	v_sub_f16_e32 v39, v36, v39
	v_fma_f16 v6, v6, 2.0, -v13
	v_lshlrev_b32_e32 v65, 1, v7
	v_fma_f16 v36, v36, 2.0, -v39
	v_pack_b32_f16 v53, v6, v13
	v_add_u32_e32 v6, 0, v65
	v_pack_b32_f16 v36, v36, v39
	v_lshrrev_b32_e32 v33, 16, v33
	s_load_dwordx2 s[2:3], s[2:3], 0x0
	s_waitcnt lgkmcnt(0)
	; wave barrier
	s_waitcnt lgkmcnt(0)
	ds_read_u16 v18, v6 offset:1512
	ds_read_u16 v17, v6 offset:1638
	;; [unrolled: 1-line block ×4, first 2 shown]
	ds_read_u16 v54, v6
	ds_read_u16 v70, v6 offset:126
	ds_read_u16 v71, v6 offset:252
	;; [unrolled: 1-line block ×15, first 2 shown]
	s_waitcnt lgkmcnt(0)
	; wave barrier
	s_waitcnt lgkmcnt(0)
	ds_write_b32 v41, v36
	v_sub_f16_e32 v36, v33, v38
	v_fma_f16 v33, v33, 2.0, -v36
	v_pack_b32_f16 v33, v33, v36
	v_lshrrev_b32_e32 v27, 16, v27
	ds_write_b32 v42, v33
	v_sub_f16_e32 v33, v27, v35
	v_fma_f16 v27, v27, 2.0, -v33
	v_pack_b32_f16 v27, v27, v33
	v_lshrrev_b32_e32 v24, 16, v24
	ds_write_b32 v43, v27
	v_sub_f16_e32 v27, v24, v34
	v_fma_f16 v24, v24, 2.0, -v27
	v_pack_b32_f16 v24, v24, v27
	v_lshrrev_b32_e32 v12, 16, v12
	ds_write_b32 v44, v24
	v_sub_f16_e32 v24, v12, v32
	v_fma_f16 v12, v12, 2.0, -v24
	v_pack_b32_f16 v12, v12, v24
	ds_write_b32 v45, v12
	v_lshrrev_b32_e32 v12, 16, v15
	v_sub_f16_e32 v15, v12, v26
	v_fma_f16 v12, v12, 2.0, -v15
	v_pack_b32_f16 v12, v12, v15
	ds_write_b32 v46, v12
	v_lshrrev_b32_e32 v12, 16, v22
	;; [unrolled: 5-line block ×4, first 2 shown]
	v_sub_f16_e32 v15, v12, v16
	v_fma_f16 v12, v12, 2.0, -v15
	v_pack_b32_f16 v12, v12, v15
	ds_write_b32 v51, v12
	v_and_b32_e32 v12, 1, v7
	v_lshlrev_b32_e32 v15, 2, v12
	ds_write_b32 v40, v53
	s_waitcnt lgkmcnt(0)
	; wave barrier
	s_waitcnt lgkmcnt(0)
	global_load_dword v31, v15, s[8:9]
	v_and_b32_e32 v22, 1, v52
	v_and_b32_e32 v15, 1, v0
	v_lshlrev_b32_e32 v23, 2, v22
	v_lshlrev_b32_e32 v16, 2, v15
	global_load_ushort v32, v23, s[8:9] offset:2
	global_load_dword v33, v23, s[8:9]
	global_load_ushort v36, v16, s[8:9]
	v_and_b32_e32 v24, 1, v10
	v_and_b32_e32 v16, 1, v8
	v_lshlrev_b32_e32 v25, 2, v24
	v_lshlrev_b32_e32 v23, 2, v16
	global_load_ushort v35, v25, s[8:9]
	global_load_ushort v41, v23, s[8:9] offset:2
	global_load_ushort v39, v23, s[8:9]
	global_load_ushort v37, v25, s[8:9] offset:2
	v_and_b32_e32 v25, 1, v48
	v_lshlrev_b32_e32 v26, 2, v25
	ds_read_u16 v51, v6 offset:1260
	ds_read_u16 v49, v6 offset:1386
	;; [unrolled: 1-line block ×7, first 2 shown]
	global_load_ushort v63, v26, s[8:9]
	global_load_ushort v64, v26, s[8:9] offset:2
	s_movk_i32 s0, 0x7c
	v_and_or_b32 v27, v65, s0, v12
	v_lshl_add_u32 v65, v27, 1, 0
	s_movk_i32 s0, 0xfc
	s_movk_i32 s1, 0x2fc
	s_waitcnt vmcnt(9) lgkmcnt(6)
	v_mul_f16_sdwa v23, v51, v31 dst_sel:DWORD dst_unused:UNUSED_PAD src0_sel:DWORD src1_sel:WORD_1
	v_fma_f16 v23, v30, v31, v23
	v_sub_f16_e32 v23, v54, v23
	v_fma_f16 v26, v54, 2.0, -v23
	ds_read_u16 v45, v6 offset:1008
	ds_read_u16 v62, v6
	ds_read_u16 v60, v6 offset:126
	ds_read_u16 v58, v6 offset:252
	;; [unrolled: 1-line block ×11, first 2 shown]
	s_waitcnt lgkmcnt(0)
	; wave barrier
	s_waitcnt lgkmcnt(0)
	ds_write_b16 v65, v26
	ds_write_b16 v65, v23 offset:4
	v_lshlrev_b32_e32 v23, 1, v0
	v_and_or_b32 v15, v23, s0, v15
	s_waitcnt vmcnt(7)
	v_mul_f16_sdwa v23, v49, v33 dst_sel:DWORD dst_unused:UNUSED_PAD src0_sel:DWORD src1_sel:WORD_1
	s_waitcnt vmcnt(6)
	v_fma_f16 v23, v29, v36, v23
	v_sub_f16_e32 v23, v70, v23
	v_fma_f16 v26, v70, 2.0, -v23
	v_lshl_add_u32 v70, v15, 1, 0
	v_mul_f16_sdwa v15, v47, v31 dst_sel:DWORD dst_unused:UNUSED_PAD src0_sel:DWORD src1_sel:WORD_1
	ds_write_b16 v70, v26
	ds_write_b16 v70, v23 offset:4
	v_fma_f16 v15, v18, v31, v15
	s_movk_i32 s0, 0x1fc
	v_lshlrev_b32_e32 v26, 1, v5
	v_sub_f16_e32 v15, v71, v15
	v_and_or_b32 v26, v26, s0, v12
	v_fma_f16 v23, v71, 2.0, -v15
	v_lshl_add_u32 v73, v26, 1, 0
	ds_write_b16 v73, v23
	ds_write_b16 v73, v15 offset:4
	v_lshlrev_b32_e32 v15, 1, v8
	v_and_or_b32 v15, v15, s0, v16
	s_waitcnt vmcnt(4)
	v_mul_f16_e32 v16, v46, v41
	s_waitcnt vmcnt(3)
	v_fma_f16 v16, v17, v39, v16
	v_sub_f16_e32 v16, v72, v16
	v_fma_f16 v23, v72, 2.0, -v16
	v_lshl_add_u32 v74, v15, 1, 0
	v_mul_f16_sdwa v15, v61, v31 dst_sel:DWORD dst_unused:UNUSED_PAD src0_sel:DWORD src1_sel:WORD_1
	ds_write_b16 v74, v23
	ds_write_b16 v74, v16 offset:4
	v_fma_f16 v15, v14, v31, v15
	s_movk_i32 s0, 0x3fc
	v_lshlrev_b32_e32 v23, 1, v11
	v_sub_f16_e32 v15, v75, v15
	v_and_or_b32 v23, v23, s0, v12
	v_fma_f16 v16, v75, 2.0, -v15
	v_lshl_add_u32 v75, v23, 1, 0
	ds_write_b16 v75, v16
	ds_write_b16 v75, v15 offset:4
	s_waitcnt vmcnt(2)
	v_mul_f16_e32 v16, v59, v37
	v_lshlrev_b32_e32 v15, 1, v10
	v_fma_f16 v16, v13, v35, v16
	v_and_or_b32 v15, v15, s1, v24
	v_sub_f16_e32 v16, v76, v16
	v_fma_f16 v23, v76, 2.0, -v16
	v_lshl_add_u32 v76, v15, 1, 0
	v_mul_f16_sdwa v15, v69, v31 dst_sel:DWORD dst_unused:UNUSED_PAD src0_sel:DWORD src1_sel:WORD_1
	ds_write_b16 v76, v23
	ds_write_b16 v76, v16 offset:4
	v_fma_f16 v15, v28, v31, v15
	v_lshlrev_b32_e32 v23, 1, v9
	v_sub_f16_e32 v15, v77, v15
	v_and_or_b32 v23, v23, s0, v12
	v_fma_f16 v16, v77, 2.0, -v15
	v_lshl_add_u32 v77, v23, 1, 0
	ds_write_b16 v77, v16
	ds_write_b16 v77, v15 offset:4
	v_lshlrev_b32_e32 v15, 1, v48
	v_and_or_b32 v15, v15, s0, v25
	s_waitcnt vmcnt(0)
	v_mul_f16_e32 v16, v68, v64
	v_lshl_add_u32 v80, v15, 1, 0
	v_lshlrev_b32_e32 v15, 1, v50
	s_movk_i32 s0, 0x7fc
	v_fma_f16 v16, v21, v63, v16
	v_and_or_b32 v12, v15, s0, v12
	v_mul_f16_sdwa v15, v67, v31 dst_sel:DWORD dst_unused:UNUSED_PAD src0_sel:DWORD src1_sel:WORD_1
	v_sub_f16_e32 v16, v78, v16
	v_fma_f16 v15, v20, v31, v15
	v_fma_f16 v23, v78, 2.0, -v16
	v_sub_f16_e32 v15, v79, v15
	ds_write_b16 v80, v23
	ds_write_b16 v80, v16 offset:4
	v_fma_f16 v16, v79, 2.0, -v15
	v_lshl_add_u32 v81, v12, 1, 0
	ds_write_b16 v81, v16
	ds_write_b16 v81, v15 offset:4
	v_mul_f16_e32 v15, v66, v32
	v_lshlrev_b32_e32 v12, 1, v52
	s_movk_i32 s0, 0x4fc
	v_fma_f16 v15, v19, v33, v15
	v_and_or_b32 v12, v12, s0, v22
	v_sub_f16_e32 v27, v82, v15
	v_fma_f16 v15, v82, 2.0, -v27
	v_lshl_add_u32 v82, v12, 1, 0
	ds_write_b16 v82, v15
	ds_write_b16 v82, v27 offset:4
	s_waitcnt lgkmcnt(0)
	; wave barrier
	s_waitcnt lgkmcnt(0)
	ds_read_u16 v40, v6 offset:1932
	ds_read_u16 v42, v6 offset:2058
	ds_read_u16 v25, v6
	ds_read_u16 v24, v6 offset:126
	ds_read_u16 v23, v6 offset:252
	;; [unrolled: 1-line block ×15, first 2 shown]
	v_cmp_gt_u32_e64 s[0:1], 42, v7
                                        ; implicit-def: $vgpr26
	s_and_saveexec_b64 s[4:5], s[0:1]
	s_cbranch_execz .LBB0_15
; %bb.14:
	ds_read_u16 v15, v6 offset:756
	ds_read_u16 v27, v6 offset:1596
	ds_read_u16 v26, v6 offset:2436
.LBB0_15:
	s_or_b64 exec, exec, s[4:5]
	v_mul_f16_sdwa v30, v30, v31 dst_sel:DWORD dst_unused:UNUSED_PAD src0_sel:DWORD src1_sel:WORD_1
	v_mul_f16_sdwa v29, v29, v33 dst_sel:DWORD dst_unused:UNUSED_PAD src0_sel:DWORD src1_sel:WORD_1
	v_mul_f16_e32 v13, v13, v37
	v_mul_f16_sdwa v28, v28, v31 dst_sel:DWORD dst_unused:UNUSED_PAD src0_sel:DWORD src1_sel:WORD_1
	v_mul_f16_e32 v21, v21, v64
	v_mul_f16_sdwa v20, v20, v31 dst_sel:DWORD dst_unused:UNUSED_PAD src0_sel:DWORD src1_sel:WORD_1
	v_fma_f16 v30, v51, v31, -v30
	v_fma_f16 v29, v49, v36, -v29
	v_mul_f16_sdwa v18, v18, v31 dst_sel:DWORD dst_unused:UNUSED_PAD src0_sel:DWORD src1_sel:WORD_1
	v_mul_f16_e32 v17, v17, v41
	v_mul_f16_sdwa v14, v14, v31 dst_sel:DWORD dst_unused:UNUSED_PAD src0_sel:DWORD src1_sel:WORD_1
	v_fma_f16 v13, v59, v35, -v13
	v_fma_f16 v28, v69, v31, -v28
	;; [unrolled: 1-line block ×4, first 2 shown]
	v_mul_f16_e32 v19, v19, v32
	v_fma_f16 v18, v47, v31, -v18
	v_fma_f16 v17, v46, v39, -v17
	;; [unrolled: 1-line block ×4, first 2 shown]
	v_sub_f16_e32 v30, v62, v30
	v_sub_f16_e32 v29, v60, v29
	;; [unrolled: 1-line block ×6, first 2 shown]
	v_fma_f16 v31, v62, 2.0, -v30
	v_fma_f16 v32, v60, 2.0, -v29
	v_sub_f16_e32 v18, v58, v18
	v_sub_f16_e32 v17, v57, v17
	;; [unrolled: 1-line block ×3, first 2 shown]
	v_fma_f16 v39, v55, 2.0, -v13
	v_fma_f16 v41, v54, 2.0, -v28
	;; [unrolled: 1-line block ×4, first 2 shown]
	v_sub_f16_e32 v53, v34, v19
	v_fma_f16 v33, v58, 2.0, -v18
	v_fma_f16 v35, v57, 2.0, -v17
	v_fma_f16 v37, v56, 2.0, -v36
	v_fma_f16 v14, v34, 2.0, -v53
	s_waitcnt lgkmcnt(0)
	; wave barrier
	s_waitcnt lgkmcnt(0)
	ds_write_b16 v65, v31
	ds_write_b16 v65, v30 offset:4
	ds_write_b16 v70, v32
	ds_write_b16 v70, v29 offset:4
	ds_write_b16 v73, v33
	ds_write_b16 v73, v18 offset:4
	ds_write_b16 v74, v35
	ds_write_b16 v74, v17 offset:4
	ds_write_b16 v75, v37
	ds_write_b16 v75, v36 offset:4
	ds_write_b16 v76, v39
	ds_write_b16 v76, v13 offset:4
	ds_write_b16 v77, v41
	ds_write_b16 v77, v28 offset:4
	ds_write_b16 v80, v46
	ds_write_b16 v80, v21 offset:4
	ds_write_b16 v81, v45
	ds_write_b16 v81, v20 offset:4
	ds_write_b16 v82, v14
	ds_write_b16 v82, v53 offset:4
	s_waitcnt lgkmcnt(0)
	; wave barrier
	s_waitcnt lgkmcnt(0)
	ds_read_u16 v34, v6 offset:966
	ds_read_u16 v29, v6 offset:1806
	;; [unrolled: 1-line block ×4, first 2 shown]
	ds_read_u16 v21, v6
	ds_read_u16 v20, v6 offset:126
	ds_read_u16 v19, v6 offset:252
	;; [unrolled: 1-line block ×13, first 2 shown]
                                        ; implicit-def: $vgpr51
	s_and_saveexec_b64 s[4:5], s[0:1]
	s_cbranch_execz .LBB0_17
; %bb.16:
	ds_read_u16 v14, v6 offset:756
	ds_read_u16 v53, v6 offset:1596
	;; [unrolled: 1-line block ×3, first 2 shown]
.LBB0_17:
	s_or_b64 exec, exec, s[4:5]
	v_and_b32_e32 v61, 3, v7
	v_lshlrev_b32_e32 v28, 3, v61
	global_load_dwordx2 v[57:58], v28, s[8:9] offset:8
	v_and_b32_e32 v64, 3, v10
	v_lshlrev_b32_e32 v62, 3, v64
	global_load_dword v65, v62, s[8:9] offset:8
	global_load_dword v67, v62, s[8:9] offset:12
	v_and_b32_e32 v63, 3, v0
	v_and_b32_e32 v68, 3, v5
	;; [unrolled: 1-line block ×3, first 2 shown]
	s_mov_b32 s4, 0xbaee
	s_movk_i32 s5, 0x3aee
	global_load_dword v66, v62, s[8:9] offset:10
	s_waitcnt vmcnt(3)
	v_mul_f16_sdwa v31, v79, v57 dst_sel:DWORD dst_unused:UNUSED_PAD src0_sel:DWORD src1_sel:WORD_1
	v_mul_f16_sdwa v33, v78, v58 dst_sel:DWORD dst_unused:UNUSED_PAD src0_sel:DWORD src1_sel:WORD_1
	s_waitcnt lgkmcnt(5)
	v_mul_f16_sdwa v28, v30, v57 dst_sel:DWORD dst_unused:UNUSED_PAD src0_sel:DWORD src1_sel:WORD_1
	v_fma_f16 v30, v30, v57, -v31
	s_waitcnt lgkmcnt(3)
	v_mul_f16_sdwa v31, v32, v58 dst_sel:DWORD dst_unused:UNUSED_PAD src0_sel:DWORD src1_sel:WORD_1
	v_fma_f16 v32, v32, v58, -v33
	v_lshlrev_b32_e32 v33, 3, v63
	global_load_ushort v35, v33, s[8:9] offset:8
	s_waitcnt vmcnt(3)
	v_mul_f16_sdwa v33, v34, v65 dst_sel:DWORD dst_unused:UNUSED_PAD src0_sel:DWORD src1_sel:WORD_1
	v_mul_f16_sdwa v36, v72, v65 dst_sel:DWORD dst_unused:UNUSED_PAD src0_sel:DWORD src1_sel:WORD_1
	s_waitcnt vmcnt(2)
	v_mul_f16_sdwa v37, v71, v67 dst_sel:DWORD dst_unused:UNUSED_PAD src0_sel:DWORD src1_sel:WORD_1
	v_fma_f16 v28, v79, v57, v28
	v_fma_f16 v31, v78, v58, v31
	s_waitcnt vmcnt(0)
	v_fma_f16 v33, v72, v35, v33
	v_fma_f16 v34, v34, v35, -v36
	v_lshrrev_b32_e32 v36, 16, v66
	v_mul_f16_sdwa v35, v29, v67 dst_sel:DWORD dst_unused:UNUSED_PAD src0_sel:DWORD src1_sel:WORD_1
	v_fma_f16 v35, v71, v36, v35
	v_fma_f16 v36, v29, v36, -v37
	v_lshlrev_b32_e32 v29, 3, v68
	global_load_ushort v49, v29, s[8:9] offset:8
	v_and_b32_e32 v29, 3, v9
	v_lshlrev_b32_e32 v69, 3, v29
	global_load_dword v70, v69, s[8:9] offset:8
	global_load_dword v71, v69, s[8:9] offset:10
	;; [unrolled: 1-line block ×3, first 2 shown]
	s_waitcnt vmcnt(2)
	v_mul_f16_sdwa v37, v39, v70 dst_sel:DWORD dst_unused:UNUSED_PAD src0_sel:DWORD src1_sel:WORD_1
	v_fma_f16 v37, v38, v49, v37
	v_mul_f16_sdwa v38, v38, v70 dst_sel:DWORD dst_unused:UNUSED_PAD src0_sel:DWORD src1_sel:WORD_1
	v_fma_f16 v38, v39, v49, -v38
	s_waitcnt vmcnt(1)
	v_lshrrev_b32_e32 v49, 16, v71
	s_waitcnt vmcnt(0)
	v_mul_f16_sdwa v39, v41, v72 dst_sel:DWORD dst_unused:UNUSED_PAD src0_sel:DWORD src1_sel:WORD_1
	v_fma_f16 v39, v40, v49, v39
	v_mul_f16_sdwa v40, v40, v72 dst_sel:DWORD dst_unused:UNUSED_PAD src0_sel:DWORD src1_sel:WORD_1
	v_fma_f16 v40, v41, v49, -v40
	v_lshlrev_b32_e32 v41, 3, v73
	global_load_dwordx2 v[59:60], v41, s[8:9] offset:8
	s_waitcnt vmcnt(0)
	v_mul_f16_sdwa v41, v45, v59 dst_sel:DWORD dst_unused:UNUSED_PAD src0_sel:DWORD src1_sel:WORD_1
	v_fma_f16 v41, v44, v59, v41
	v_mul_f16_sdwa v44, v44, v59 dst_sel:DWORD dst_unused:UNUSED_PAD src0_sel:DWORD src1_sel:WORD_1
	v_fma_f16 v44, v45, v59, -v44
	v_mul_f16_sdwa v45, v46, v60 dst_sel:DWORD dst_unused:UNUSED_PAD src0_sel:DWORD src1_sel:WORD_1
	v_fma_f16 v45, v42, v60, v45
	v_mul_f16_sdwa v42, v42, v60 dst_sel:DWORD dst_unused:UNUSED_PAD src0_sel:DWORD src1_sel:WORD_1
	v_fma_f16 v49, v46, v60, -v42
	;; [unrolled: 4-line block ×3, first 2 shown]
	s_waitcnt lgkmcnt(1)
	v_mul_f16_sdwa v43, v56, v58 dst_sel:DWORD dst_unused:UNUSED_PAD src0_sel:DWORD src1_sel:WORD_1
	v_fma_f16 v47, v50, v58, v43
	v_mul_f16_sdwa v43, v50, v58 dst_sel:DWORD dst_unused:UNUSED_PAD src0_sel:DWORD src1_sel:WORD_1
	v_fma_f16 v50, v56, v58, -v43
	global_load_ushort v56, v62, s[8:9] offset:14
	v_mul_f16_e32 v43, v54, v66
	v_fma_f16 v43, v48, v65, v43
	v_mul_f16_e32 v48, v48, v66
	v_fma_f16 v48, v54, v65, -v48
	v_add_f16_e32 v58, v37, v39
	v_add_f16_e32 v60, v41, v45
	s_waitcnt vmcnt(0) lgkmcnt(0)
	v_mul_f16_e32 v54, v55, v56
	v_fma_f16 v54, v52, v67, v54
	v_mul_f16_e32 v52, v52, v56
	v_fma_f16 v56, v55, v67, -v52
	v_mul_f16_e32 v52, v53, v71
	v_fma_f16 v52, v27, v70, v52
	v_mul_f16_e32 v27, v27, v71
	v_fma_f16 v55, v53, v70, -v27
	global_load_ushort v27, v69, s[8:9] offset:14
	v_add_f16_e32 v67, v42, v47
	s_waitcnt lgkmcnt(0)
	; wave barrier
	s_waitcnt vmcnt(0)
	v_mul_f16_e32 v53, v51, v27
	v_fma_f16 v62, v26, v72, v53
	v_mul_f16_e32 v26, v26, v27
	v_add_f16_e32 v27, v28, v31
	v_fma_f16 v66, v51, v72, -v26
	v_add_f16_e32 v26, v25, v28
	v_fma_f16 v25, v27, -0.5, v25
	v_sub_f16_e32 v27, v30, v32
	v_add_f16_e32 v53, v33, v35
	v_fma_f16 v51, v27, s4, v25
	v_fma_f16 v25, v27, s5, v25
	v_add_f16_e32 v27, v24, v33
	v_fma_f16 v24, v53, -0.5, v24
	v_sub_f16_e32 v53, v34, v36
	v_fma_f16 v57, v53, s4, v24
	v_fma_f16 v24, v53, s5, v24
	v_add_f16_e32 v53, v23, v37
	v_fma_f16 v23, v58, -0.5, v23
	v_sub_f16_e32 v58, v38, v40
	;; [unrolled: 5-line block ×4, first 2 shown]
	v_fma_f16 v74, v67, s4, v16
	v_fma_f16 v67, v67, s5, v16
	v_add_f16_e32 v16, v12, v43
	v_add_f16_e32 v76, v16, v54
	;; [unrolled: 1-line block ×3, first 2 shown]
	v_fma_f16 v12, v16, -0.5, v12
	v_sub_f16_e32 v16, v48, v56
	v_fma_f16 v77, v16, s4, v12
	v_fma_f16 v78, v16, s5, v12
	v_add_f16_e32 v16, v52, v62
	v_add_f16_e32 v12, v15, v52
	v_fma_f16 v15, v16, -0.5, v15
	v_sub_f16_e32 v69, v55, v66
	v_fma_f16 v16, v69, s4, v15
	v_fma_f16 v15, v69, s5, v15
	v_lshrrev_b32_e32 v69, 2, v7
	v_mul_u32_u24_e32 v69, 12, v69
	v_or_b32_e32 v69, v69, v61
	v_add_f16_e32 v26, v26, v31
	v_lshl_add_u32 v69, v69, 1, 0
	ds_write_b16 v69, v26
	ds_write_b16 v69, v51 offset:8
	ds_write_b16 v69, v25 offset:16
	v_lshrrev_b32_e32 v25, 2, v0
	v_mul_u32_u24_e32 v25, 12, v25
	v_or_b32_e32 v25, v25, v63
	v_add_f16_e32 v27, v27, v35
	v_lshl_add_u32 v70, v25, 1, 0
	ds_write_b16 v70, v27
	ds_write_b16 v70, v57 offset:8
	ds_write_b16 v70, v24 offset:16
	;; [unrolled: 8-line block ×4, first 2 shown]
	v_lshrrev_b32_e32 v22, 2, v11
	v_mul_u32_u24_e32 v22, 12, v22
	v_or_b32_e32 v22, v22, v61
	v_lshl_add_u32 v73, v22, 1, 0
	v_lshrrev_b32_e32 v22, 2, v10
	v_mul_u32_u24_e32 v22, 12, v22
	v_add_f16_e32 v60, v60, v47
	v_or_b32_e32 v22, v22, v64
	v_add_f16_e32 v12, v12, v62
	ds_write_b16 v73, v60
	ds_write_b16 v73, v74 offset:8
	ds_write_b16 v73, v67 offset:16
	v_lshl_add_u32 v75, v22, 1, 0
	v_lshrrev_b32_e32 v74, 2, v9
	ds_write_b16 v75, v76
	ds_write_b16 v75, v77 offset:8
	ds_write_b16 v75, v78 offset:16
	s_and_saveexec_b64 s[4:5], s[0:1]
	s_cbranch_execz .LBB0_19
; %bb.18:
	v_mul_u32_u24_e32 v22, 12, v74
	v_or_b32_e32 v22, v22, v29
	v_lshl_add_u32 v22, v22, 1, 0
	ds_write_b16 v22, v12
	ds_write_b16 v22, v16 offset:8
	ds_write_b16 v22, v15 offset:16
.LBB0_19:
	s_or_b64 exec, exec, s[4:5]
	s_waitcnt lgkmcnt(0)
	; wave barrier
	s_waitcnt lgkmcnt(0)
	ds_read_u16 v65, v6 offset:966
	ds_read_u16 v64, v6 offset:1806
	ds_read_u16 v61, v6 offset:1932
	ds_read_u16 v59, v6 offset:2058
	ds_read_u16 v27, v6
	ds_read_u16 v26, v6 offset:126
	ds_read_u16 v25, v6 offset:252
	;; [unrolled: 1-line block ×13, first 2 shown]
	s_and_saveexec_b64 s[4:5], s[0:1]
	s_cbranch_execz .LBB0_21
; %bb.20:
	ds_read_u16 v12, v6 offset:756
	ds_read_u16 v16, v6 offset:1596
	;; [unrolled: 1-line block ×3, first 2 shown]
.LBB0_21:
	s_or_b64 exec, exec, s[4:5]
	v_add_f16_e32 v76, v21, v30
	v_add_f16_e32 v30, v30, v32
	v_fma_f16 v21, v30, -0.5, v21
	v_sub_f16_e32 v28, v28, v31
	s_movk_i32 s4, 0x3aee
	s_mov_b32 s5, 0xbaee
	v_add_f16_e32 v31, v34, v36
	v_fma_f16 v30, v28, s4, v21
	v_fma_f16 v21, v28, s5, v21
	v_add_f16_e32 v28, v20, v34
	v_fma_f16 v20, v31, -0.5, v20
	v_sub_f16_e32 v31, v33, v35
	v_add_f16_e32 v76, v76, v32
	v_fma_f16 v32, v31, s4, v20
	v_fma_f16 v20, v31, s5, v20
	v_add_f16_e32 v31, v19, v38
	v_add_f16_e32 v34, v31, v40
	;; [unrolled: 1-line block ×3, first 2 shown]
	v_fma_f16 v19, v31, -0.5, v19
	v_sub_f16_e32 v31, v37, v39
	v_fma_f16 v35, v31, s4, v19
	v_fma_f16 v19, v31, s5, v19
	v_add_f16_e32 v31, v18, v44
	v_add_f16_e32 v28, v28, v36
	;; [unrolled: 1-line block ×4, first 2 shown]
	v_fma_f16 v18, v31, -0.5, v18
	v_sub_f16_e32 v31, v41, v45
	v_fma_f16 v37, v31, s4, v18
	v_fma_f16 v18, v31, s5, v18
	v_add_f16_e32 v31, v17, v46
	v_add_f16_e32 v38, v31, v50
	v_add_f16_e32 v31, v46, v50
	v_fma_f16 v17, v31, -0.5, v17
	v_sub_f16_e32 v31, v42, v47
	v_fma_f16 v39, v31, s4, v17
	v_fma_f16 v17, v31, s5, v17
	v_add_f16_e32 v31, v13, v48
	v_add_f16_e32 v40, v31, v56
	;; [unrolled: 1-line block ×3, first 2 shown]
	v_fma_f16 v13, v31, -0.5, v13
	v_sub_f16_e32 v31, v43, v54
	v_fma_f16 v41, v31, s4, v13
	v_fma_f16 v42, v31, s5, v13
	v_add_f16_e32 v31, v55, v66
	v_add_f16_e32 v13, v14, v55
	v_fma_f16 v14, v31, -0.5, v14
	v_sub_f16_e32 v31, v52, v62
	v_add_f16_e32 v13, v13, v66
	v_fma_f16 v33, v31, s4, v14
	v_fma_f16 v31, v31, s5, v14
	s_waitcnt lgkmcnt(0)
	; wave barrier
	s_waitcnt lgkmcnt(0)
	ds_write_b16 v69, v76
	ds_write_b16 v69, v30 offset:8
	ds_write_b16 v69, v21 offset:16
	ds_write_b16 v70, v28
	ds_write_b16 v70, v32 offset:8
	ds_write_b16 v70, v20 offset:16
	;; [unrolled: 3-line block ×6, first 2 shown]
	s_and_saveexec_b64 s[4:5], s[0:1]
	s_cbranch_execz .LBB0_23
; %bb.22:
	v_mul_u32_u24_e32 v14, 12, v74
	v_or_b32_e32 v14, v14, v29
	v_lshl_add_u32 v14, v14, 1, 0
	ds_write_b16 v14, v13
	ds_write_b16 v14, v33 offset:8
	ds_write_b16 v14, v31 offset:16
.LBB0_23:
	s_or_b64 exec, exec, s[4:5]
	s_waitcnt lgkmcnt(0)
	; wave barrier
	s_waitcnt lgkmcnt(0)
	ds_read_u16 v35, v6 offset:966
	ds_read_u16 v37, v6 offset:1806
	;; [unrolled: 1-line block ×4, first 2 shown]
	ds_read_u16 v21, v6
	ds_read_u16 v20, v6 offset:126
	ds_read_u16 v19, v6 offset:252
	;; [unrolled: 1-line block ×13, first 2 shown]
	s_and_saveexec_b64 s[4:5], s[0:1]
	s_cbranch_execz .LBB0_25
; %bb.24:
	ds_read_u16 v13, v6 offset:756
	ds_read_u16 v33, v6 offset:1596
	;; [unrolled: 1-line block ×3, first 2 shown]
.LBB0_25:
	s_or_b64 exec, exec, s[4:5]
	s_movk_i32 s4, 0xab
	v_mul_lo_u16_sdwa v28, v7, s4 dst_sel:DWORD dst_unused:UNUSED_PAD src0_sel:BYTE_0 src1_sel:DWORD
	v_lshrrev_b16_e32 v56, 11, v28
	v_mul_lo_u16_e32 v28, 12, v56
	v_sub_u16_e32 v28, v7, v28
	v_mov_b32_e32 v42, 1
	v_mov_b32_e32 v44, 3
	v_lshlrev_b32_sdwa v62, v42, v28 dst_sel:DWORD dst_unused:UNUSED_PAD src0_sel:DWORD src1_sel:BYTE_0
	v_lshlrev_b32_sdwa v28, v44, v28 dst_sel:DWORD dst_unused:UNUSED_PAD src0_sel:DWORD src1_sel:BYTE_0
	global_load_dwordx2 v[54:55], v28, s[8:9] offset:40
	s_mov_b32 s6, 0xbaee
	s_movk_i32 s7, 0x3aee
	s_waitcnt vmcnt(0)
	v_mul_f16_sdwa v30, v68, v54 dst_sel:DWORD dst_unused:UNUSED_PAD src0_sel:DWORD src1_sel:WORD_1
	v_mul_f16_sdwa v34, v67, v55 dst_sel:DWORD dst_unused:UNUSED_PAD src0_sel:DWORD src1_sel:WORD_1
	s_waitcnt lgkmcnt(5)
	v_mul_f16_sdwa v28, v29, v54 dst_sel:DWORD dst_unused:UNUSED_PAD src0_sel:DWORD src1_sel:WORD_1
	v_fma_f16 v29, v29, v54, -v30
	s_waitcnt lgkmcnt(3)
	v_mul_f16_sdwa v30, v32, v55 dst_sel:DWORD dst_unused:UNUSED_PAD src0_sel:DWORD src1_sel:WORD_1
	v_fma_f16 v32, v32, v55, -v34
	v_mul_lo_u16_sdwa v34, v0, s4 dst_sel:DWORD dst_unused:UNUSED_PAD src0_sel:BYTE_0 src1_sel:DWORD
	v_lshrrev_b16_e32 v66, 11, v34
	v_mul_lo_u16_e32 v34, 12, v66
	v_sub_u16_e32 v34, v0, v34
	v_fma_f16 v30, v67, v55, v30
	v_lshlrev_b32_sdwa v67, v42, v34 dst_sel:DWORD dst_unused:UNUSED_PAD src0_sel:DWORD src1_sel:BYTE_0
	v_lshlrev_b32_sdwa v34, v44, v34 dst_sel:DWORD dst_unused:UNUSED_PAD src0_sel:DWORD src1_sel:BYTE_0
	v_fma_f16 v28, v68, v54, v28
	global_load_dwordx2 v[54:55], v34, s[8:9] offset:40
	s_waitcnt vmcnt(0)
	v_mul_f16_sdwa v36, v65, v54 dst_sel:DWORD dst_unused:UNUSED_PAD src0_sel:DWORD src1_sel:WORD_1
	v_mul_f16_sdwa v38, v64, v55 dst_sel:DWORD dst_unused:UNUSED_PAD src0_sel:DWORD src1_sel:WORD_1
	;; [unrolled: 1-line block ×3, first 2 shown]
	v_fma_f16 v35, v35, v54, -v36
	v_mul_f16_sdwa v36, v37, v55 dst_sel:DWORD dst_unused:UNUSED_PAD src0_sel:DWORD src1_sel:WORD_1
	v_fma_f16 v37, v37, v55, -v38
	v_mul_lo_u16_sdwa v38, v5, s4 dst_sel:DWORD dst_unused:UNUSED_PAD src0_sel:BYTE_0 src1_sel:DWORD
	v_fma_f16 v36, v64, v55, v36
	v_lshrrev_b16_e32 v64, 11, v38
	v_mul_lo_u16_e32 v38, 12, v64
	v_sub_u16_e32 v38, v5, v38
	v_fma_f16 v34, v65, v54, v34
	v_lshlrev_b32_sdwa v65, v42, v38 dst_sel:DWORD dst_unused:UNUSED_PAD src0_sel:DWORD src1_sel:BYTE_0
	v_lshlrev_b32_sdwa v38, v44, v38 dst_sel:DWORD dst_unused:UNUSED_PAD src0_sel:DWORD src1_sel:BYTE_0
	global_load_dwordx2 v[54:55], v38, s[8:9] offset:40
	s_waitcnt vmcnt(0)
	v_mul_f16_sdwa v40, v63, v54 dst_sel:DWORD dst_unused:UNUSED_PAD src0_sel:DWORD src1_sel:WORD_1
	v_mul_f16_sdwa v47, v61, v55 dst_sel:DWORD dst_unused:UNUSED_PAD src0_sel:DWORD src1_sel:WORD_1
	;; [unrolled: 1-line block ×3, first 2 shown]
	v_fma_f16 v39, v39, v54, -v40
	v_mul_f16_sdwa v40, v41, v55 dst_sel:DWORD dst_unused:UNUSED_PAD src0_sel:DWORD src1_sel:WORD_1
	v_fma_f16 v41, v41, v55, -v47
	v_mul_lo_u16_sdwa v47, v8, s4 dst_sel:DWORD dst_unused:UNUSED_PAD src0_sel:BYTE_0 src1_sel:DWORD
	v_fma_f16 v40, v61, v55, v40
	v_lshrrev_b16_e32 v61, 11, v47
	v_mul_lo_u16_e32 v47, 12, v61
	v_sub_u16_e32 v47, v8, v47
	v_fma_f16 v38, v63, v54, v38
	v_lshlrev_b32_sdwa v63, v42, v47 dst_sel:DWORD dst_unused:UNUSED_PAD src0_sel:DWORD src1_sel:BYTE_0
	v_lshlrev_b32_sdwa v42, v44, v47 dst_sel:DWORD dst_unused:UNUSED_PAD src0_sel:DWORD src1_sel:BYTE_0
	global_load_dwordx2 v[54:55], v42, s[8:9] offset:40
	s_mov_b32 s4, 0xaaab
	s_waitcnt vmcnt(0)
	v_mul_f16_sdwa v44, v60, v54 dst_sel:DWORD dst_unused:UNUSED_PAD src0_sel:DWORD src1_sel:WORD_1
	v_mul_f16_sdwa v47, v59, v55 dst_sel:DWORD dst_unused:UNUSED_PAD src0_sel:DWORD src1_sel:WORD_1
	;; [unrolled: 1-line block ×3, first 2 shown]
	v_fma_f16 v43, v43, v54, -v44
	v_mul_f16_sdwa v44, v45, v55 dst_sel:DWORD dst_unused:UNUSED_PAD src0_sel:DWORD src1_sel:WORD_1
	v_fma_f16 v45, v45, v55, -v47
	v_mul_u32_u24_sdwa v47, v11, s4 dst_sel:DWORD dst_unused:UNUSED_PAD src0_sel:WORD_0 src1_sel:DWORD
	v_fma_f16 v44, v59, v55, v44
	v_lshrrev_b32_e32 v59, 19, v47
	v_mul_lo_u16_e32 v47, 12, v59
	v_sub_u16_e32 v11, v11, v47
	v_fma_f16 v42, v60, v54, v42
	v_lshlrev_b32_e32 v60, 1, v11
	v_lshlrev_b32_e32 v11, 3, v11
	global_load_dwordx2 v[54:55], v11, s[8:9] offset:40
	s_waitcnt vmcnt(0)
	v_mul_f16_sdwa v47, v57, v54 dst_sel:DWORD dst_unused:UNUSED_PAD src0_sel:DWORD src1_sel:WORD_1
	v_mul_f16_sdwa v50, v58, v55 dst_sel:DWORD dst_unused:UNUSED_PAD src0_sel:DWORD src1_sel:WORD_1
	;; [unrolled: 1-line block ×3, first 2 shown]
	v_fma_f16 v46, v46, v54, -v47
	s_waitcnt lgkmcnt(1)
	v_mul_f16_sdwa v47, v48, v55 dst_sel:DWORD dst_unused:UNUSED_PAD src0_sel:DWORD src1_sel:WORD_1
	v_fma_f16 v48, v48, v55, -v50
	v_mul_u32_u24_sdwa v50, v10, s4 dst_sel:DWORD dst_unused:UNUSED_PAD src0_sel:WORD_0 src1_sel:DWORD
	v_fma_f16 v47, v58, v55, v47
	v_lshrrev_b32_e32 v58, 19, v50
	v_mul_lo_u16_e32 v50, 12, v58
	v_sub_u16_e32 v10, v10, v50
	v_lshlrev_b32_e32 v68, 1, v10
	v_lshlrev_b32_e32 v10, 3, v10
	v_fma_f16 v11, v57, v54, v11
	global_load_dwordx2 v[54:55], v10, s[8:9] offset:40
	s_waitcnt vmcnt(0)
	v_mul_f16_sdwa v50, v53, v54 dst_sel:DWORD dst_unused:UNUSED_PAD src0_sel:DWORD src1_sel:WORD_1
	v_mul_f16_sdwa v10, v49, v54 dst_sel:DWORD dst_unused:UNUSED_PAD src0_sel:DWORD src1_sel:WORD_1
	v_fma_f16 v49, v49, v54, -v50
	s_waitcnt lgkmcnt(0)
	v_mul_f16_sdwa v50, v52, v55 dst_sel:DWORD dst_unused:UNUSED_PAD src0_sel:DWORD src1_sel:WORD_1
	v_fma_f16 v50, v51, v55, v50
	v_mul_f16_sdwa v51, v51, v55 dst_sel:DWORD dst_unused:UNUSED_PAD src0_sel:DWORD src1_sel:WORD_1
	v_fma_f16 v51, v52, v55, -v51
	v_mul_u32_u24_sdwa v52, v9, s4 dst_sel:DWORD dst_unused:UNUSED_PAD src0_sel:WORD_0 src1_sel:DWORD
	v_lshrrev_b32_e32 v69, 19, v52
	v_mul_lo_u16_e32 v52, 12, v69
	v_sub_u16_e32 v70, v9, v52
	v_lshlrev_b32_e32 v9, 3, v70
	v_fma_f16 v10, v53, v54, v10
	global_load_dwordx2 v[53:54], v9, s[8:9] offset:40
	s_waitcnt lgkmcnt(0)
	; wave barrier
	s_waitcnt vmcnt(0)
	v_mul_f16_sdwa v9, v33, v53 dst_sel:DWORD dst_unused:UNUSED_PAD src0_sel:DWORD src1_sel:WORD_1
	v_fma_f16 v52, v16, v53, v9
	v_mul_f16_sdwa v9, v16, v53 dst_sel:DWORD dst_unused:UNUSED_PAD src0_sel:DWORD src1_sel:WORD_1
	v_fma_f16 v16, v33, v53, -v9
	v_mul_f16_sdwa v9, v31, v54 dst_sel:DWORD dst_unused:UNUSED_PAD src0_sel:DWORD src1_sel:WORD_1
	v_fma_f16 v53, v15, v54, v9
	v_mul_f16_sdwa v9, v15, v54 dst_sel:DWORD dst_unused:UNUSED_PAD src0_sel:DWORD src1_sel:WORD_1
	v_fma_f16 v33, v31, v54, -v9
	v_add_f16_e32 v9, v27, v28
	v_add_f16_e32 v31, v9, v30
	v_add_f16_e32 v9, v28, v30
	v_fma_f16 v9, v9, -0.5, v27
	v_sub_f16_e32 v15, v29, v32
	v_fma_f16 v27, v15, s6, v9
	v_fma_f16 v54, v15, s7, v9
	v_add_f16_e32 v9, v26, v34
	v_add_f16_e32 v55, v9, v36
	v_add_f16_e32 v9, v34, v36
	v_fma_f16 v9, v9, -0.5, v26
	v_sub_f16_e32 v15, v35, v37
	v_fma_f16 v26, v15, s6, v9
	v_fma_f16 v57, v15, s7, v9
	v_add_f16_e32 v9, v25, v38
	v_add_f16_e32 v71, v9, v40
	v_add_f16_e32 v9, v38, v40
	v_fma_f16 v9, v9, -0.5, v25
	v_sub_f16_e32 v15, v39, v41
	v_fma_f16 v72, v15, s6, v9
	v_fma_f16 v73, v15, s7, v9
	v_add_f16_e32 v9, v24, v42
	v_add_f16_e32 v74, v9, v44
	v_add_f16_e32 v9, v42, v44
	v_fma_f16 v9, v9, -0.5, v24
	v_sub_f16_e32 v15, v43, v45
	v_fma_f16 v24, v15, s6, v9
	v_fma_f16 v75, v15, s7, v9
	v_add_f16_e32 v9, v23, v11
	v_add_f16_e32 v76, v9, v47
	;; [unrolled: 1-line block ×3, first 2 shown]
	v_fma_f16 v9, v9, -0.5, v23
	v_mul_u32_u24_e32 v23, 0x48, v56
	v_mul_u32_u24_e32 v25, 0x48, v66
	v_sub_f16_e32 v15, v46, v48
	v_add3_u32 v23, 0, v23, v62
	v_add3_u32 v25, 0, v25, v67
	v_fma_f16 v77, v15, s6, v9
	v_fma_f16 v78, v15, s7, v9
	v_add_f16_e32 v9, v22, v10
	ds_write_b16 v23, v31
	ds_write_b16 v23, v27 offset:24
	ds_write_b16 v23, v54 offset:48
	ds_write_b16 v25, v55
	ds_write_b16 v25, v26 offset:24
	ds_write_b16 v25, v57 offset:48
	v_mul_u32_u24_e32 v26, 0x48, v64
	v_add_f16_e32 v79, v9, v50
	v_add_f16_e32 v9, v10, v50
	v_add3_u32 v55, 0, v26, v65
	v_mul_u32_u24_e32 v26, 0x48, v61
	v_fma_f16 v9, v9, -0.5, v22
	v_sub_f16_e32 v15, v49, v51
	v_add3_u32 v56, 0, v26, v63
	v_fma_f16 v80, v15, s6, v9
	v_fma_f16 v81, v15, s7, v9
	v_add_f16_e32 v9, v52, v53
	ds_write_b16 v55, v71
	ds_write_b16 v55, v72 offset:24
	ds_write_b16 v55, v73 offset:48
	ds_write_b16 v56, v74
	ds_write_b16 v56, v24 offset:24
	ds_write_b16 v56, v75 offset:48
	v_mul_u32_u24_e32 v24, 0x48, v59
	v_fma_f16 v15, v9, -0.5, v12
	v_sub_f16_e32 v22, v16, v33
	v_add3_u32 v57, 0, v24, v60
	v_mul_u32_u24_e32 v24, 0x48, v58
	v_fma_f16 v9, v22, s7, v15
	v_add3_u32 v58, 0, v24, v68
	v_mul_lo_u16_e32 v26, 36, v69
	v_lshlrev_b32_e32 v54, 1, v70
	ds_write_b16 v57, v76
	ds_write_b16 v57, v77 offset:24
	ds_write_b16 v57, v78 offset:48
	ds_write_b16 v58, v79
	ds_write_b16 v58, v80 offset:24
	ds_write_b16 v58, v81 offset:48
	s_and_saveexec_b64 s[4:5], s[0:1]
	s_cbranch_execz .LBB0_27
; %bb.26:
	v_mul_f16_e32 v22, 0x3aee, v22
	v_sub_f16_e32 v15, v15, v22
	v_add_f16_e32 v12, v12, v52
	v_lshlrev_b32_e32 v22, 1, v26
	v_add_f16_e32 v12, v12, v53
	v_add3_u32 v22, 0, v54, v22
	ds_write_b16 v22, v12
	ds_write_b16 v22, v15 offset:24
	ds_write_b16 v22, v9 offset:48
.LBB0_27:
	s_or_b64 exec, exec, s[4:5]
	v_add_f16_e32 v12, v21, v29
	v_add_f16_e32 v59, v12, v32
	v_add_f16_e32 v12, v29, v32
	v_fma_f16 v12, v12, -0.5, v21
	v_sub_f16_e32 v15, v28, v30
	v_fma_f16 v28, v15, s7, v12
	v_fma_f16 v60, v15, s6, v12
	v_add_f16_e32 v12, v20, v35
	v_add_f16_e32 v61, v12, v37
	v_add_f16_e32 v12, v35, v37
	v_fma_f16 v12, v12, -0.5, v20
	v_sub_f16_e32 v15, v34, v36
	v_fma_f16 v62, v15, s7, v12
	v_fma_f16 v63, v15, s6, v12
	;; [unrolled: 7-line block ×6, first 2 shown]
	s_waitcnt lgkmcnt(0)
	; wave barrier
	s_waitcnt lgkmcnt(0)
	ds_read_u16 v15, v6
	ds_read_u16 v12, v6 offset:126
	ds_read_u16 v11, v6 offset:252
	;; [unrolled: 1-line block ×19, first 2 shown]
	v_add_f16_e32 v10, v16, v33
	v_fma_f16 v17, v10, -0.5, v13
	v_sub_f16_e32 v18, v52, v53
	v_fma_f16 v10, v18, s6, v17
	s_waitcnt lgkmcnt(0)
	; wave barrier
	s_waitcnt lgkmcnt(0)
	ds_write_b16 v23, v59
	ds_write_b16 v23, v28 offset:24
	ds_write_b16 v23, v60 offset:48
	ds_write_b16 v25, v61
	ds_write_b16 v25, v62 offset:24
	ds_write_b16 v25, v63 offset:48
	;; [unrolled: 3-line block ×6, first 2 shown]
	s_and_saveexec_b64 s[4:5], s[0:1]
	s_cbranch_execz .LBB0_29
; %bb.28:
	v_mul_f16_e32 v18, 0x3aee, v18
	v_add_f16_e32 v13, v13, v16
	v_add_f16_e32 v16, v18, v17
	v_lshlrev_b32_e32 v17, 1, v26
	v_add_f16_e32 v13, v13, v33
	v_add3_u32 v17, 0, v54, v17
	ds_write_b16 v17, v13
	ds_write_b16 v17, v16 offset:24
	ds_write_b16 v17, v10 offset:48
.LBB0_29:
	s_or_b64 exec, exec, s[4:5]
	v_subrev_u32_e32 v25, 36, v7
	v_cmp_gt_u32_e64 s[0:1], 36, v7
	v_cndmask_b32_e64 v66, v25, v7, s[0:1]
	v_lshlrev_b32_e32 v25, 2, v66
	v_mov_b32_e32 v26, 0
	v_lshlrev_b64 v[25:26], 2, v[25:26]
	v_mov_b32_e32 v28, s9
	v_add_co_u32_e64 v25, s[0:1], s8, v25
	v_addc_co_u32_e64 v26, s[0:1], v28, v26, s[0:1]
	s_waitcnt lgkmcnt(0)
	; wave barrier
	s_waitcnt lgkmcnt(0)
	ds_read_u16 v19, v6
	ds_read_u16 v13, v6 offset:504
	ds_read_u16 v23, v6 offset:1008
	ds_read_u16 v33, v6 offset:1512
	ds_read_u16 v44, v6 offset:2016
	ds_read_u16 v17, v6 offset:126
	ds_read_u16 v45, v6 offset:630
	ds_read_u16 v51, v6 offset:1134
	ds_read_u16 v52, v6 offset:1638
	ds_read_u16 v53, v6 offset:2142
	ds_read_u16 v18, v6 offset:252
	ds_read_u16 v54, v6 offset:756
	ds_read_u16 v55, v6 offset:1260
	ds_read_u16 v56, v6 offset:1764
	ds_read_u16 v57, v6 offset:2268
	ds_read_u16 v16, v6 offset:378
	ds_read_u16 v58, v6 offset:882
	ds_read_u16 v59, v6 offset:1386
	ds_read_u16 v60, v6 offset:1890
	ds_read_u16 v61, v6 offset:2394
	global_load_dwordx4 v[39:42], v[25:26], off offset:136
	v_mov_b32_e32 v62, 4
	s_mov_b32 s7, 0xbb9c
	s_movk_i32 s11, 0x3b9c
	s_mov_b32 s6, 0xb8b4
	s_movk_i32 s12, 0x38b4
	s_movk_i32 s10, 0x34f2
	v_cmp_lt_u32_e64 s[0:1], 35, v7
	v_lshlrev_b32_e32 v66, 1, v66
	s_waitcnt vmcnt(0) lgkmcnt(14)
	v_mul_f16_sdwa v25, v13, v39 dst_sel:DWORD dst_unused:UNUSED_PAD src0_sel:DWORD src1_sel:WORD_1
	v_fma_f16 v25, v20, v39, v25
	v_mul_f16_sdwa v20, v20, v39 dst_sel:DWORD dst_unused:UNUSED_PAD src0_sel:DWORD src1_sel:WORD_1
	v_fma_f16 v20, v13, v39, -v20
	v_mul_f16_sdwa v13, v23, v40 dst_sel:DWORD dst_unused:UNUSED_PAD src0_sel:DWORD src1_sel:WORD_1
	v_fma_f16 v26, v21, v40, v13
	v_mul_f16_sdwa v13, v21, v40 dst_sel:DWORD dst_unused:UNUSED_PAD src0_sel:DWORD src1_sel:WORD_1
	v_fma_f16 v21, v23, v40, -v13
	;; [unrolled: 4-line block ×4, first 2 shown]
	v_mov_b32_e32 v13, 57
	v_mul_lo_u16_sdwa v33, v0, v13 dst_sel:DWORD dst_unused:UNUSED_PAD src0_sel:BYTE_0 src1_sel:DWORD
	v_lshrrev_b16_e32 v67, 11, v33
	v_mul_lo_u16_e32 v33, 36, v67
	v_sub_u16_e32 v68, v0, v33
	v_lshlrev_b32_sdwa v33, v62, v68 dst_sel:DWORD dst_unused:UNUSED_PAD src0_sel:DWORD src1_sel:BYTE_0
	global_load_dwordx4 v[47:50], v33, s[8:9] offset:136
	s_waitcnt vmcnt(0) lgkmcnt(13)
	v_mul_f16_sdwa v33, v45, v47 dst_sel:DWORD dst_unused:UNUSED_PAD src0_sel:DWORD src1_sel:WORD_1
	v_fma_f16 v39, v36, v47, v33
	v_mul_f16_sdwa v33, v36, v47 dst_sel:DWORD dst_unused:UNUSED_PAD src0_sel:DWORD src1_sel:WORD_1
	s_waitcnt lgkmcnt(12)
	v_mul_f16_sdwa v36, v51, v48 dst_sel:DWORD dst_unused:UNUSED_PAD src0_sel:DWORD src1_sel:WORD_1
	v_fma_f16 v40, v35, v48, v36
	s_waitcnt lgkmcnt(11)
	v_mul_f16_sdwa v36, v52, v49 dst_sel:DWORD dst_unused:UNUSED_PAD src0_sel:DWORD src1_sel:WORD_1
	v_fma_f16 v41, v37, v49, v36
	v_mul_f16_sdwa v36, v37, v49 dst_sel:DWORD dst_unused:UNUSED_PAD src0_sel:DWORD src1_sel:WORD_1
	s_waitcnt lgkmcnt(10)
	v_mul_f16_sdwa v37, v53, v50 dst_sel:DWORD dst_unused:UNUSED_PAD src0_sel:DWORD src1_sel:WORD_1
	v_fma_f16 v42, v43, v50, v37
	v_mul_f16_sdwa v37, v43, v50 dst_sel:DWORD dst_unused:UNUSED_PAD src0_sel:DWORD src1_sel:WORD_1
	v_mul_lo_u16_sdwa v43, v5, v13 dst_sel:DWORD dst_unused:UNUSED_PAD src0_sel:BYTE_0 src1_sel:DWORD
	v_lshrrev_b16_e32 v69, 11, v43
	v_mul_lo_u16_e32 v43, 36, v69
	v_sub_u16_e32 v70, v5, v43
	v_mul_f16_sdwa v35, v35, v48 dst_sel:DWORD dst_unused:UNUSED_PAD src0_sel:DWORD src1_sel:WORD_1
	v_lshlrev_b32_sdwa v43, v62, v70 dst_sel:DWORD dst_unused:UNUSED_PAD src0_sel:DWORD src1_sel:BYTE_0
	v_fma_f16 v35, v51, v48, -v35
	v_fma_f16 v36, v52, v49, -v36
	;; [unrolled: 1-line block ×3, first 2 shown]
	global_load_dwordx4 v[48:51], v43, s[8:9] offset:136
	v_fma_f16 v33, v45, v47, -v33
	v_mul_lo_u16_sdwa v13, v8, v13 dst_sel:DWORD dst_unused:UNUSED_PAD src0_sel:BYTE_0 src1_sel:DWORD
	s_waitcnt vmcnt(0) lgkmcnt(8)
	v_mul_f16_sdwa v43, v54, v48 dst_sel:DWORD dst_unused:UNUSED_PAD src0_sel:DWORD src1_sel:WORD_1
	v_fma_f16 v47, v34, v48, v43
	v_mul_f16_sdwa v34, v34, v48 dst_sel:DWORD dst_unused:UNUSED_PAD src0_sel:DWORD src1_sel:WORD_1
	v_fma_f16 v43, v54, v48, -v34
	s_waitcnt lgkmcnt(7)
	v_mul_f16_sdwa v34, v55, v49 dst_sel:DWORD dst_unused:UNUSED_PAD src0_sel:DWORD src1_sel:WORD_1
	v_fma_f16 v48, v32, v49, v34
	v_mul_f16_sdwa v32, v32, v49 dst_sel:DWORD dst_unused:UNUSED_PAD src0_sel:DWORD src1_sel:WORD_1
	v_fma_f16 v44, v55, v49, -v32
	s_waitcnt lgkmcnt(6)
	;; [unrolled: 5-line block ×3, first 2 shown]
	v_mul_f16_sdwa v32, v57, v51 dst_sel:DWORD dst_unused:UNUSED_PAD src0_sel:DWORD src1_sel:WORD_1
	v_fma_f16 v50, v46, v51, v32
	v_mul_f16_sdwa v32, v46, v51 dst_sel:DWORD dst_unused:UNUSED_PAD src0_sel:DWORD src1_sel:WORD_1
	v_fma_f16 v46, v57, v51, -v32
	v_lshrrev_b16_e32 v32, 11, v13
	v_mul_lo_u16_e32 v13, 36, v32
	v_sub_u16_e32 v34, v8, v13
	v_lshlrev_b32_sdwa v8, v62, v34 dst_sel:DWORD dst_unused:UNUSED_PAD src0_sel:DWORD src1_sel:BYTE_0
	global_load_dwordx4 v[51:54], v8, s[8:9] offset:136
	v_sub_f16_e32 v13, v20, v24
	v_sub_f16_e32 v38, v29, v28
	;; [unrolled: 1-line block ×5, first 2 shown]
	v_add_f16_e32 v57, v57, v71
	v_sub_f16_e32 v72, v49, v50
	s_waitcnt lgkmcnt(0)
	; wave barrier
	s_waitcnt vmcnt(0) lgkmcnt(0)
	v_mul_f16_sdwa v8, v58, v51 dst_sel:DWORD dst_unused:UNUSED_PAD src0_sel:DWORD src1_sel:WORD_1
	v_fma_f16 v62, v27, v51, v8
	v_mul_f16_sdwa v8, v27, v51 dst_sel:DWORD dst_unused:UNUSED_PAD src0_sel:DWORD src1_sel:WORD_1
	v_fma_f16 v58, v58, v51, -v8
	v_mul_f16_sdwa v8, v59, v52 dst_sel:DWORD dst_unused:UNUSED_PAD src0_sel:DWORD src1_sel:WORD_1
	v_fma_f16 v63, v31, v52, v8
	v_mul_f16_sdwa v8, v31, v52 dst_sel:DWORD dst_unused:UNUSED_PAD src0_sel:DWORD src1_sel:WORD_1
	v_fma_f16 v59, v59, v52, -v8
	;; [unrolled: 4-line block ×4, first 2 shown]
	v_add_f16_e32 v8, v15, v25
	v_add_f16_e32 v8, v8, v26
	;; [unrolled: 1-line block ×5, first 2 shown]
	v_fma_f16 v8, v8, -0.5, v15
	v_fma_f16 v27, v13, s7, v8
	v_sub_f16_e32 v30, v21, v23
	v_sub_f16_e32 v31, v25, v26
	v_fma_f16 v8, v13, s11, v8
	v_fma_f16 v27, v30, s6, v27
	v_add_f16_e32 v31, v31, v38
	v_fma_f16 v8, v30, s12, v8
	v_fma_f16 v27, v31, s10, v27
	;; [unrolled: 1-line block ×3, first 2 shown]
	v_add_f16_e32 v8, v25, v29
	v_fma_f16 v8, v8, -0.5, v15
	v_fma_f16 v15, v30, s11, v8
	v_sub_f16_e32 v38, v26, v25
	v_sub_f16_e32 v51, v28, v29
	v_fma_f16 v8, v30, s7, v8
	v_add_f16_e32 v38, v38, v51
	v_fma_f16 v8, v13, s12, v8
	v_fma_f16 v30, v38, s10, v8
	v_add_f16_e32 v8, v12, v39
	v_add_f16_e32 v8, v8, v40
	v_fma_f16 v15, v13, s6, v15
	v_add_f16_e32 v8, v8, v41
	v_fma_f16 v51, v38, s10, v15
	v_add_f16_e32 v38, v8, v42
	v_add_f16_e32 v8, v40, v41
	v_fma_f16 v8, v8, -0.5, v12
	v_sub_f16_e32 v13, v33, v37
	v_fma_f16 v15, v13, s7, v8
	v_sub_f16_e32 v52, v35, v36
	v_sub_f16_e32 v53, v39, v40
	;; [unrolled: 1-line block ×3, first 2 shown]
	v_fma_f16 v8, v13, s11, v8
	v_fma_f16 v15, v52, s6, v15
	v_add_f16_e32 v53, v53, v54
	v_fma_f16 v8, v52, s12, v8
	v_fma_f16 v54, v53, s10, v15
	;; [unrolled: 1-line block ×3, first 2 shown]
	v_add_f16_e32 v8, v39, v42
	v_fma_f16 v8, v8, -0.5, v12
	v_fma_f16 v12, v52, s11, v8
	v_sub_f16_e32 v15, v40, v39
	v_fma_f16 v8, v52, s7, v8
	v_add_f16_e32 v15, v15, v55
	v_fma_f16 v8, v13, s12, v8
	v_fma_f16 v52, v15, s10, v8
	v_add_f16_e32 v8, v11, v47
	v_add_f16_e32 v8, v8, v48
	v_add_f16_e32 v8, v8, v49
	v_fma_f16 v12, v13, s6, v12
	v_add_f16_e32 v56, v8, v50
	v_add_f16_e32 v8, v48, v49
	v_fma_f16 v55, v15, s10, v12
	v_fma_f16 v8, v8, -0.5, v11
	v_sub_f16_e32 v12, v43, v46
	v_fma_f16 v13, v12, s7, v8
	v_sub_f16_e32 v15, v44, v45
	v_fma_f16 v13, v15, s6, v13
	v_fma_f16 v71, v57, s10, v13
	;; [unrolled: 1-line block ×3, first 2 shown]
	v_add_f16_e32 v13, v47, v50
	v_fma_f16 v8, v15, s12, v8
	v_fma_f16 v11, v13, -0.5, v11
	v_fma_f16 v8, v57, s10, v8
	v_fma_f16 v13, v15, s11, v11
	v_sub_f16_e32 v57, v48, v47
	v_fma_f16 v11, v15, s7, v11
	v_fma_f16 v13, v12, s6, v13
	v_add_f16_e32 v57, v57, v72
	v_fma_f16 v11, v12, s12, v11
	v_add_f16_e32 v12, v63, v64
	v_fma_f16 v72, v57, s10, v13
	v_fma_f16 v13, v12, -0.5, v14
	v_sub_f16_e32 v15, v58, v61
	v_fma_f16 v12, v15, s7, v13
	v_sub_f16_e32 v73, v59, v60
	v_sub_f16_e32 v74, v62, v63
	;; [unrolled: 1-line block ×3, first 2 shown]
	v_fma_f16 v13, v15, s11, v13
	v_fma_f16 v12, v73, s6, v12
	v_add_f16_e32 v74, v74, v75
	v_fma_f16 v13, v73, s12, v13
	v_fma_f16 v12, v74, s10, v12
	;; [unrolled: 1-line block ×3, first 2 shown]
	v_add_f16_e32 v74, v62, v65
	v_fma_f16 v74, v74, -0.5, v14
	v_fma_f16 v57, v57, s10, v11
	v_add_f16_e32 v11, v14, v62
	v_fma_f16 v14, v73, s11, v74
	v_fma_f16 v73, v73, s7, v74
	;; [unrolled: 1-line block ×4, first 2 shown]
	v_mov_b32_e32 v73, 0x168
	v_cndmask_b32_e64 v73, 0, v73, s[0:1]
	v_add3_u32 v66, 0, v73, v66
	ds_write_b16 v66, v22
	ds_write_b16 v66, v27 offset:72
	ds_write_b16 v66, v51 offset:144
	;; [unrolled: 1-line block ×4, first 2 shown]
	v_mov_b32_e32 v27, 1
	v_mul_u32_u24_e32 v22, 0x168, v67
	v_lshlrev_b32_sdwa v30, v27, v68 dst_sel:DWORD dst_unused:UNUSED_PAD src0_sel:DWORD src1_sel:BYTE_0
	v_add_f16_e32 v11, v11, v63
	v_add3_u32 v67, 0, v22, v30
	v_mul_u32_u24_e32 v22, 0x168, v69
	v_lshlrev_b32_sdwa v30, v27, v70 dst_sel:DWORD dst_unused:UNUSED_PAD src0_sel:DWORD src1_sel:BYTE_0
	v_add_f16_e32 v11, v11, v64
	v_sub_f16_e32 v75, v63, v62
	v_sub_f16_e32 v76, v64, v65
	v_add3_u32 v68, 0, v22, v30
	v_mul_u32_u24_e32 v22, 0x168, v32
	v_lshlrev_b32_sdwa v27, v27, v34 dst_sel:DWORD dst_unused:UNUSED_PAD src0_sel:DWORD src1_sel:BYTE_0
	v_add_f16_e32 v11, v11, v65
	v_add_f16_e32 v75, v75, v76
	v_add3_u32 v69, 0, v22, v27
	v_fma_f16 v14, v75, s10, v14
	v_fma_f16 v15, v75, s10, v15
	ds_write_b16 v67, v38
	ds_write_b16 v67, v54 offset:72
	ds_write_b16 v67, v55 offset:144
	ds_write_b16 v67, v52 offset:216
	ds_write_b16 v67, v53 offset:288
	ds_write_b16 v68, v56
	ds_write_b16 v68, v71 offset:72
	ds_write_b16 v68, v72 offset:144
	ds_write_b16 v68, v57 offset:216
	ds_write_b16 v68, v8 offset:288
	;; [unrolled: 5-line block ×3, first 2 shown]
	s_waitcnt lgkmcnt(0)
	; wave barrier
	s_waitcnt lgkmcnt(0)
	ds_read_u16 v22, v6
	ds_read_u16 v31, v6 offset:360
	ds_read_u16 v27, v6 offset:720
	;; [unrolled: 1-line block ×13, first 2 shown]
	v_cmp_gt_u32_e64 s[0:1], 54, v7
	s_and_saveexec_b64 s[4:5], s[0:1]
	s_cbranch_execz .LBB0_31
; %bb.30:
	ds_read_u16 v8, v6 offset:252
	ds_read_u16 v11, v6 offset:612
	;; [unrolled: 1-line block ×7, first 2 shown]
.LBB0_31:
	s_or_b64 exec, exec, s[4:5]
	v_add_f16_e32 v71, v21, v23
	v_fma_f16 v71, v71, -0.5, v19
	v_sub_f16_e32 v25, v25, v29
	v_fma_f16 v29, v25, s11, v71
	v_sub_f16_e32 v26, v26, v28
	v_fma_f16 v28, v26, s12, v29
	v_sub_f16_e32 v29, v20, v21
	v_sub_f16_e32 v72, v24, v23
	v_fma_f16 v71, v25, s7, v71
	v_add_f16_e32 v29, v29, v72
	v_fma_f16 v71, v26, s6, v71
	v_fma_f16 v28, v29, s10, v28
	;; [unrolled: 1-line block ×3, first 2 shown]
	v_add_f16_e32 v71, v20, v24
	v_add_f16_e32 v70, v19, v20
	v_fma_f16 v19, v71, -0.5, v19
	v_add_f16_e32 v70, v70, v21
	v_fma_f16 v71, v26, s7, v19
	v_sub_f16_e32 v20, v21, v20
	v_sub_f16_e32 v21, v23, v24
	v_fma_f16 v19, v26, s11, v19
	v_add_f16_e32 v70, v70, v23
	v_add_f16_e32 v20, v20, v21
	v_fma_f16 v19, v25, s6, v19
	v_add_f16_e32 v70, v70, v24
	v_fma_f16 v24, v20, s10, v19
	v_add_f16_e32 v19, v17, v33
	v_add_f16_e32 v19, v19, v35
	;; [unrolled: 1-line block ×3, first 2 shown]
	v_fma_f16 v71, v25, s12, v71
	v_add_f16_e32 v25, v19, v37
	v_add_f16_e32 v19, v35, v36
	v_fma_f16 v23, v20, s10, v71
	v_fma_f16 v19, v19, -0.5, v17
	v_sub_f16_e32 v20, v39, v42
	v_fma_f16 v21, v20, s11, v19
	v_sub_f16_e32 v26, v40, v41
	v_sub_f16_e32 v39, v33, v35
	;; [unrolled: 1-line block ×3, first 2 shown]
	v_fma_f16 v19, v20, s7, v19
	v_fma_f16 v21, v26, s12, v21
	v_add_f16_e32 v39, v39, v40
	v_fma_f16 v19, v26, s6, v19
	v_fma_f16 v40, v39, s10, v21
	v_fma_f16 v39, v39, s10, v19
	v_add_f16_e32 v19, v33, v37
	v_fma_f16 v17, v19, -0.5, v17
	v_fma_f16 v19, v26, s7, v17
	v_sub_f16_e32 v21, v35, v33
	v_sub_f16_e32 v33, v36, v37
	v_fma_f16 v17, v26, s11, v17
	v_add_f16_e32 v21, v21, v33
	v_fma_f16 v17, v20, s6, v17
	v_fma_f16 v26, v21, s10, v17
	v_add_f16_e32 v17, v18, v43
	v_add_f16_e32 v17, v17, v44
	;; [unrolled: 1-line block ×3, first 2 shown]
	v_fma_f16 v19, v20, s12, v19
	v_add_f16_e32 v35, v17, v46
	v_add_f16_e32 v17, v44, v45
	v_fma_f16 v33, v21, s10, v19
	v_fma_f16 v17, v17, -0.5, v18
	v_sub_f16_e32 v19, v47, v50
	v_fma_f16 v20, v19, s11, v17
	v_sub_f16_e32 v21, v48, v49
	v_sub_f16_e32 v36, v43, v44
	;; [unrolled: 1-line block ×3, first 2 shown]
	v_fma_f16 v20, v21, s12, v20
	v_add_f16_e32 v36, v36, v37
	v_fma_f16 v37, v36, s10, v20
	v_fma_f16 v17, v19, s7, v17
	v_add_f16_e32 v20, v43, v46
	v_fma_f16 v17, v21, s6, v17
	v_fma_f16 v18, v20, -0.5, v18
	v_fma_f16 v17, v36, s10, v17
	v_fma_f16 v20, v21, s7, v18
	v_sub_f16_e32 v36, v44, v43
	v_sub_f16_e32 v41, v45, v46
	v_fma_f16 v18, v21, s11, v18
	v_fma_f16 v20, v19, s12, v20
	v_add_f16_e32 v36, v36, v41
	v_fma_f16 v18, v19, s6, v18
	v_add_f16_e32 v19, v59, v60
	v_fma_f16 v41, v36, s10, v20
	v_fma_f16 v20, v19, -0.5, v16
	v_sub_f16_e32 v21, v62, v65
	v_fma_f16 v19, v21, s11, v20
	v_sub_f16_e32 v42, v63, v64
	v_sub_f16_e32 v43, v58, v59
	;; [unrolled: 1-line block ×3, first 2 shown]
	v_fma_f16 v20, v21, s7, v20
	v_fma_f16 v19, v42, s12, v19
	v_add_f16_e32 v43, v43, v44
	v_fma_f16 v20, v42, s6, v20
	v_fma_f16 v19, v43, s10, v19
	;; [unrolled: 1-line block ×3, first 2 shown]
	v_add_f16_e32 v43, v58, v61
	v_fma_f16 v36, v36, s10, v18
	v_add_f16_e32 v18, v16, v58
	v_fma_f16 v43, v43, -0.5, v16
	v_add_f16_e32 v18, v18, v59
	v_fma_f16 v16, v42, s7, v43
	v_sub_f16_e32 v44, v59, v58
	v_sub_f16_e32 v45, v60, v61
	v_fma_f16 v42, v42, s11, v43
	v_add_f16_e32 v18, v18, v60
	v_fma_f16 v16, v21, s12, v16
	v_add_f16_e32 v44, v44, v45
	;; [unrolled: 2-line block ×3, first 2 shown]
	v_fma_f16 v16, v44, s10, v16
	v_fma_f16 v21, v44, s10, v21
	s_waitcnt lgkmcnt(0)
	; wave barrier
	s_waitcnt lgkmcnt(0)
	ds_write_b16 v66, v70
	ds_write_b16 v66, v28 offset:72
	ds_write_b16 v66, v23 offset:144
	ds_write_b16 v66, v24 offset:216
	ds_write_b16 v66, v29 offset:288
	ds_write_b16 v67, v25
	ds_write_b16 v67, v40 offset:72
	ds_write_b16 v67, v33 offset:144
	ds_write_b16 v67, v26 offset:216
	ds_write_b16 v67, v39 offset:288
	;; [unrolled: 5-line block ×4, first 2 shown]
	s_waitcnt lgkmcnt(0)
	; wave barrier
	s_waitcnt lgkmcnt(0)
	ds_read_u16 v23, v6
	ds_read_u16 v24, v6 offset:1440
	ds_read_u16 v37, v6 offset:1206
	;; [unrolled: 1-line block ×13, first 2 shown]
	s_and_saveexec_b64 s[4:5], s[0:1]
	s_cbranch_execz .LBB0_33
; %bb.32:
	ds_read_u16 v17, v6 offset:252
	ds_read_u16 v18, v6 offset:612
	;; [unrolled: 1-line block ×7, first 2 shown]
.LBB0_33:
	s_or_b64 exec, exec, s[4:5]
	s_and_saveexec_b64 s[4:5], vcc
	s_cbranch_execz .LBB0_36
; %bb.34:
	v_mul_u32_u24_e32 v0, 6, v0
	v_lshlrev_b32_e32 v0, 2, v0
	global_load_dwordx4 v[43:46], v0, s[8:9] offset:712
	global_load_dwordx2 v[58:59], v0, s[8:9] offset:728
	v_mul_u32_u24_e32 v47, 6, v7
	v_lshlrev_b32_e32 v62, 2, v47
	global_load_dwordx4 v[47:50], v62, s[8:9] offset:712
	global_load_dwordx2 v[60:61], v62, s[8:9] offset:728
	v_mul_lo_u32 v0, s3, v3
	v_mul_lo_u32 v6, s2, v4
	v_mad_u64_u32 v[3:4], s[2:3], s2, v3, 0
	s_mov_b32 s3, 0xb574
	s_movk_i32 s12, 0x3a52
	v_add3_u32 v4, v4, v6, v0
	s_mov_b32 s4, 0xbcab
	s_mov_b32 s6, 0xbb00
	s_movk_i32 s7, 0x3574
	s_mov_b32 s10, 0xb9e0
	s_movk_i32 s11, 0x39e0
	;; [unrolled: 2-line block ×3, first 2 shown]
	v_lshlrev_b64 v[3:4], 2, v[3:4]
	s_movk_i32 s5, 0x2b26
	v_add_co_u32_e32 v3, vcc, s14, v3
	s_movk_i32 s14, 0x1000
	s_waitcnt vmcnt(3) lgkmcnt(7)
	v_mul_f16_sdwa v0, v39, v43 dst_sel:DWORD dst_unused:UNUSED_PAD src0_sel:DWORD src1_sel:WORD_1
	s_waitcnt vmcnt(2) lgkmcnt(4)
	v_mul_f16_sdwa v6, v41, v59 dst_sel:DWORD dst_unused:UNUSED_PAD src0_sel:DWORD src1_sel:WORD_1
	v_mul_f16_sdwa v64, v36, v44 dst_sel:DWORD dst_unused:UNUSED_PAD src0_sel:DWORD src1_sel:WORD_1
	s_waitcnt lgkmcnt(2)
	v_mul_f16_sdwa v65, v40, v58 dst_sel:DWORD dst_unused:UNUSED_PAD src0_sel:DWORD src1_sel:WORD_1
	v_mul_f16_sdwa v66, v57, v59 dst_sel:DWORD dst_unused:UNUSED_PAD src0_sel:DWORD src1_sel:WORD_1
	;; [unrolled: 1-line block ×5, first 2 shown]
	s_waitcnt lgkmcnt(0)
	v_mul_f16_sdwa v62, v42, v46 dst_sel:DWORD dst_unused:UNUSED_PAD src0_sel:DWORD src1_sel:WORD_1
	v_mul_f16_sdwa v63, v37, v45 dst_sel:DWORD dst_unused:UNUSED_PAD src0_sel:DWORD src1_sel:WORD_1
	v_mul_f16_sdwa v68, v54, v45 dst_sel:DWORD dst_unused:UNUSED_PAD src0_sel:DWORD src1_sel:WORD_1
	v_mul_f16_sdwa v69, v56, v46 dst_sel:DWORD dst_unused:UNUSED_PAD src0_sel:DWORD src1_sel:WORD_1
	v_fma_f16 v0, v53, v43, v0
	v_fma_f16 v6, v57, v59, v6
	v_fma_f16 v52, v52, v44, v64
	v_fma_f16 v55, v55, v58, v65
	v_fma_f16 v41, v41, v59, -v66
	v_fma_f16 v39, v39, v43, -v67
	;; [unrolled: 1-line block ×4, first 2 shown]
	v_fma_f16 v53, v56, v46, v62
	v_fma_f16 v54, v54, v45, v63
	v_fma_f16 v37, v37, v45, -v68
	v_fma_f16 v42, v42, v46, -v69
	v_sub_f16_e32 v43, v0, v6
	v_sub_f16_e32 v45, v52, v55
	v_add_f16_e32 v46, v39, v41
	v_add_f16_e32 v57, v36, v40
	;; [unrolled: 1-line block ×4, first 2 shown]
	v_sub_f16_e32 v44, v53, v54
	v_add_f16_e32 v56, v42, v37
	v_add_f16_e32 v6, v53, v54
	v_sub_f16_e32 v39, v39, v41
	v_sub_f16_e32 v37, v42, v37
	;; [unrolled: 1-line block ×3, first 2 shown]
	v_add_f16_e32 v54, v46, v57
	v_add_f16_e32 v59, v0, v52
	v_sub_f16_e32 v40, v43, v44
	v_sub_f16_e32 v41, v44, v45
	v_add_f16_e32 v42, v44, v45
	v_sub_f16_e32 v44, v46, v56
	v_sub_f16_e32 v53, v56, v57
	;; [unrolled: 1-line block ×6, first 2 shown]
	v_add_f16_e32 v37, v37, v36
	v_sub_f16_e32 v45, v45, v43
	v_add_f16_e32 v54, v56, v54
	v_add_f16_e32 v6, v6, v59
	v_sub_f16_e32 v36, v36, v39
	v_mul_f16_e32 v41, 0x3846, v41
	v_add_f16_e32 v42, v43, v42
	v_mul_f16_e32 v43, 0x3a52, v44
	v_mul_f16_e32 v53, 0x2b26, v53
	;; [unrolled: 1-line block ×5, first 2 shown]
	v_add_f16_e32 v37, v39, v37
	v_add_f16_e32 v35, v35, v54
	;; [unrolled: 1-line block ×3, first 2 shown]
	v_mul_f16_e32 v67, 0xbb00, v45
	v_sub_f16_e32 v46, v57, v46
	v_sub_f16_e32 v0, v52, v0
	v_mul_f16_e32 v39, 0xbb00, v36
	v_fma_f16 v63, v40, s3, v41
	v_fma_f16 v44, v44, s12, v53
	;; [unrolled: 1-line block ×6, first 2 shown]
	v_fma_f16 v40, v40, s7, -v67
	v_fma_f16 v43, v46, s10, -v43
	;; [unrolled: 1-line block ×6, first 2 shown]
	v_fma_f16 v63, v42, s2, v63
	v_fma_f16 v64, v37, s2, v64
	v_add_f16_e32 v44, v44, v54
	v_add_f16_e32 v55, v55, v6
	v_fma_f16 v40, v42, s2, v40
	v_add_f16_e32 v43, v43, v54
	v_add_f16_e32 v52, v52, v6
	v_fma_f16 v39, v37, s2, v39
	v_fma_f16 v46, v46, s11, -v53
	v_fma_f16 v41, v45, s6, -v41
	v_fma_f16 v36, v37, s2, v36
	v_add_f16_e32 v0, v0, v6
	v_add_f16_e32 v65, v63, v44
	v_sub_f16_e32 v66, v55, v64
	v_add_f16_e32 v57, v40, v43
	v_sub_f16_e32 v56, v52, v39
	v_add_f16_e32 v46, v46, v54
	v_fma_f16 v41, v42, s2, v41
	v_add_f16_e32 v37, v36, v0
	v_sub_f16_e32 v36, v0, v36
	v_sub_f16_e32 v40, v43, v40
	v_add_f16_e32 v39, v39, v52
	v_sub_f16_e32 v43, v44, v63
	v_add_f16_e32 v44, v64, v55
	s_waitcnt vmcnt(1)
	v_mul_f16_sdwa v0, v29, v47 dst_sel:DWORD dst_unused:UNUSED_PAD src0_sel:DWORD src1_sel:WORD_1
	s_waitcnt vmcnt(0)
	v_mul_f16_sdwa v6, v33, v61 dst_sel:DWORD dst_unused:UNUSED_PAD src0_sel:DWORD src1_sel:WORD_1
	v_mul_f16_sdwa v52, v26, v49 dst_sel:DWORD dst_unused:UNUSED_PAD src0_sel:DWORD src1_sel:WORD_1
	;; [unrolled: 1-line block ×4, first 2 shown]
	v_sub_f16_e32 v42, v46, v41
	v_add_f16_e32 v41, v41, v46
	v_fma_f16 v0, v31, v47, v0
	v_fma_f16 v6, v38, v61, v6
	v_mul_f16_sdwa v46, v24, v50 dst_sel:DWORD dst_unused:UNUSED_PAD src0_sel:DWORD src1_sel:WORD_1
	v_fma_f16 v52, v30, v49, v52
	v_fma_f16 v55, v27, v48, v55
	;; [unrolled: 1-line block ×3, first 2 shown]
	v_mul_f16_sdwa v30, v30, v49 dst_sel:DWORD dst_unused:UNUSED_PAD src0_sel:DWORD src1_sel:WORD_1
	v_sub_f16_e32 v45, v0, v6
	v_fma_f16 v46, v34, v50, v46
	v_fma_f16 v26, v26, v49, -v30
	v_mul_f16_sdwa v30, v34, v50 dst_sel:DWORD dst_unused:UNUSED_PAD src0_sel:DWORD src1_sel:WORD_1
	v_mul_f16_sdwa v32, v32, v60 dst_sel:DWORD dst_unused:UNUSED_PAD src0_sel:DWORD src1_sel:WORD_1
	v_mul_f16_sdwa v27, v27, v48 dst_sel:DWORD dst_unused:UNUSED_PAD src0_sel:DWORD src1_sel:WORD_1
	v_add_f16_e32 v0, v0, v6
	v_add_f16_e32 v49, v55, v58
	v_sub_f16_e32 v53, v46, v52
	v_mul_f16_sdwa v38, v38, v61 dst_sel:DWORD dst_unused:UNUSED_PAD src0_sel:DWORD src1_sel:WORD_1
	v_mul_f16_sdwa v31, v31, v47 dst_sel:DWORD dst_unused:UNUSED_PAD src0_sel:DWORD src1_sel:WORD_1
	v_fma_f16 v24, v24, v50, -v30
	v_fma_f16 v28, v28, v60, -v32
	;; [unrolled: 1-line block ×3, first 2 shown]
	v_add_f16_e32 v6, v46, v52
	v_add_f16_e32 v52, v0, v49
	v_fma_f16 v33, v33, v61, -v38
	v_fma_f16 v29, v29, v47, -v31
	v_add_f16_e32 v30, v24, v26
	v_add_f16_e32 v27, v25, v28
	v_sub_f16_e32 v46, v0, v6
	v_sub_f16_e32 v50, v6, v49
	v_add_f16_e32 v6, v6, v52
	v_add_f16_e32 v31, v29, v33
	v_sub_f16_e32 v32, v30, v27
	v_mul_f16_e32 v48, 0x3a52, v46
	v_mul_f16_e32 v50, 0x2b26, v50
	v_add_f16_e32 v22, v22, v6
	v_sub_f16_e32 v0, v49, v0
	v_sub_f16_e32 v34, v31, v30
	v_mul_f16_e32 v32, 0x2b26, v32
	v_fma_f16 v46, v46, s12, v50
	v_fma_f16 v6, v6, s4, v22
	v_fma_f16 v48, v0, s10, -v48
	v_fma_f16 v0, v0, s11, -v50
	v_mul_f16_e32 v38, 0x3a52, v34
	v_fma_f16 v34, v34, s12, v32
	v_add_f16_e32 v46, v46, v6
	v_sub_f16_e32 v29, v29, v33
	v_sub_f16_e32 v24, v24, v26
	;; [unrolled: 1-line block ×3, first 2 shown]
	v_add_f16_e32 v48, v48, v6
	v_add_f16_e32 v0, v0, v6
	v_lshrrev_b32_e32 v6, 2, v7
	s_mov_b32 s12, 0x16c16c17
	v_sub_f16_e32 v26, v29, v24
	v_sub_f16_e32 v28, v24, v25
	v_add_f16_e32 v24, v24, v25
	v_sub_f16_e32 v25, v25, v29
	v_mul_hi_u32 v6, v6, s12
	v_mul_f16_e32 v28, 0x3846, v28
	v_add_f16_e32 v24, v29, v24
	v_mul_f16_e32 v29, 0xbb00, v25
	v_fma_f16 v33, v26, s3, v28
	v_fma_f16 v26, v26, s7, -v29
	v_fma_f16 v25, v25, s6, -v28
	v_sub_f16_e32 v59, v55, v58
	v_fma_f16 v33, v24, s2, v33
	v_fma_f16 v26, v24, s2, v26
	v_fma_f16 v24, v24, s2, v25
	v_sub_f16_e32 v54, v45, v53
	v_sub_f16_e32 v62, v53, v59
	v_add_f16_e32 v53, v53, v59
	v_add_f16_e32 v47, v31, v27
	;; [unrolled: 1-line block ×3, first 2 shown]
	v_sub_f16_e32 v24, v0, v24
	v_lshrrev_b32_e32 v0, 2, v6
	v_add_f16_e32 v53, v45, v53
	v_add_f16_e32 v30, v30, v47
	v_sub_f16_e32 v45, v59, v45
	v_mul_lo_u32 v0, v0, s16
	v_mul_f16_e32 v62, 0x3846, v62
	v_add_f16_e32 v23, v23, v30
	v_mul_f16_e32 v55, 0xbb00, v45
	v_sub_f16_e32 v27, v27, v31
	v_fma_f16 v63, v54, s3, v62
	v_fma_f16 v30, v30, s4, v23
	v_fma_f16 v54, v54, s7, -v55
	v_fma_f16 v31, v27, s10, -v38
	v_fma_f16 v54, v53, s2, v54
	v_add_f16_e32 v31, v31, v30
	v_sub_f16_e32 v52, v46, v33
	v_add_f16_e32 v38, v54, v31
	v_sub_f16_e32 v28, v31, v54
	v_add_f16_e32 v31, v33, v46
	v_sub_u32_e32 v33, v7, v0
	v_mov_b32_e32 v0, s15
	v_addc_co_u32_e32 v6, vcc, v0, v4, vcc
	v_lshlrev_b64 v[0:1], 2, v[1:2]
	v_fma_f16 v27, v27, s11, -v32
	v_add_co_u32_e32 v4, vcc, v3, v0
	v_add_f16_e32 v34, v34, v30
	v_add_f16_e32 v27, v27, v30
	v_fma_f16 v30, v45, s6, -v62
	v_addc_co_u32_e32 v6, vcc, v6, v1, vcc
	v_lshlrev_b32_e32 v0, 2, v33
	v_fma_f16 v63, v53, s2, v63
	v_fma_f16 v30, v53, s2, v30
	v_add_co_u32_e32 v2, vcc, v4, v0
	v_sub_f16_e32 v32, v27, v30
	v_add_f16_e32 v27, v30, v27
	v_sub_f16_e32 v30, v34, v63
	v_addc_co_u32_e32 v3, vcc, 0, v6, vcc
	v_pack_b32_f16 v0, v22, v23
	v_sub_f16_e32 v29, v48, v26
	v_add_f16_e32 v26, v26, v48
	global_store_dword v[2:3], v0, off
	v_pack_b32_f16 v0, v31, v30
	global_store_dword v[2:3], v0, off offset:720
	v_pack_b32_f16 v0, v26, v28
	global_store_dword v[2:3], v0, off offset:1440
	;; [unrolled: 2-line block ×3, first 2 shown]
	v_add_u32_e32 v0, 63, v7
	v_lshrrev_b32_e32 v22, 2, v0
	v_mul_hi_u32 v22, v22, s12
	v_pack_b32_f16 v23, v25, v32
	v_mov_b32_e32 v1, 0
	global_store_dword v[2:3], v23, off offset:2880
	v_lshrrev_b32_e32 v22, 2, v22
	v_mul_lo_u32 v24, v22, s16
	v_pack_b32_f16 v23, v29, v38
	s_movk_i32 s12, 0x4ec
	global_store_dword v[2:3], v23, off offset:3600
	v_sub_u32_e32 v0, v0, v24
	v_mad_u64_u32 v[22:23], s[12:13], v22, s12, v[0:1]
	v_add_f16_e32 v47, v63, v34
	v_add_co_u32_e32 v2, vcc, s14, v2
	v_pack_b32_f16 v25, v52, v47
	v_addc_co_u32_e32 v3, vcc, 0, v3, vcc
	v_mov_b32_e32 v23, v1
	global_store_dword v[2:3], v25, off offset:224
	v_lshlrev_b64 v[2:3], 2, v[22:23]
	v_pack_b32_f16 v0, v51, v35
	v_add_co_u32_e32 v2, vcc, v4, v2
	v_addc_co_u32_e32 v3, vcc, v6, v3, vcc
	global_store_dword v[2:3], v0, off
	v_add_u32_e32 v0, 0xb4, v22
	v_lshlrev_b64 v[2:3], 2, v[0:1]
	v_pack_b32_f16 v0, v44, v43
	v_add_co_u32_e32 v2, vcc, v4, v2
	v_addc_co_u32_e32 v3, vcc, v6, v3, vcc
	global_store_dword v[2:3], v0, off
	v_add_u32_e32 v0, 0x168, v22
	;; [unrolled: 6-line block ×7, first 2 shown]
	v_cmp_gt_u32_e32 vcc, s16, v2
	s_and_b64 exec, exec, vcc
	s_cbranch_execz .LBB0_36
; %bb.35:
	v_subrev_u32_e32 v0, 54, v7
	v_cndmask_b32_e64 v0, v0, v5, s[0:1]
	v_mul_i32_i24_e32 v0, 6, v0
	v_lshlrev_b64 v[22:23], 2, v[0:1]
	v_mov_b32_e32 v0, s9
	v_add_co_u32_e32 v26, vcc, s8, v22
	v_addc_co_u32_e32 v27, vcc, v0, v23, vcc
	global_load_dwordx4 v[22:25], v[26:27], off offset:712
	global_load_dwordx2 v[28:29], v[26:27], off offset:728
	s_waitcnt vmcnt(1)
	v_mul_f16_sdwa v0, v18, v22 dst_sel:DWORD dst_unused:UNUSED_PAD src0_sel:DWORD src1_sel:WORD_1
	v_mul_f16_sdwa v3, v11, v22 dst_sel:DWORD dst_unused:UNUSED_PAD src0_sel:DWORD src1_sel:WORD_1
	;; [unrolled: 1-line block ×4, first 2 shown]
	s_waitcnt vmcnt(0)
	v_mul_f16_sdwa v33, v20, v28 dst_sel:DWORD dst_unused:UNUSED_PAD src0_sel:DWORD src1_sel:WORD_1
	v_mul_f16_sdwa v34, v13, v28 dst_sel:DWORD dst_unused:UNUSED_PAD src0_sel:DWORD src1_sel:WORD_1
	;; [unrolled: 1-line block ×8, first 2 shown]
	v_fma_f16 v0, v11, v22, v0
	v_fma_f16 v3, v18, v22, -v3
	v_fma_f16 v5, v12, v23, v5
	v_fma_f16 v11, v19, v23, -v26
	;; [unrolled: 2-line block ×6, first 2 shown]
	v_add_f16_e32 v19, v0, v9
	v_add_f16_e32 v20, v3, v10
	v_sub_f16_e32 v0, v0, v9
	v_sub_f16_e32 v3, v3, v10
	v_add_f16_e32 v9, v5, v13
	v_add_f16_e32 v10, v11, v18
	v_sub_f16_e32 v5, v5, v13
	v_sub_f16_e32 v11, v11, v18
	;; [unrolled: 4-line block ×4, first 2 shown]
	v_sub_f16_e32 v19, v19, v13
	v_sub_f16_e32 v20, v20, v18
	;; [unrolled: 1-line block ×4, first 2 shown]
	v_add_f16_e32 v24, v14, v11
	v_sub_f16_e32 v26, v14, v11
	v_sub_f16_e32 v11, v11, v3
	v_add_f16_e32 v13, v13, v15
	v_add_f16_e32 v15, v18, v16
	;; [unrolled: 1-line block ×3, first 2 shown]
	v_sub_f16_e32 v25, v12, v5
	v_sub_f16_e32 v14, v3, v14
	v_add_f16_e32 v3, v24, v3
	v_mul_f16_e32 v16, 0x3a52, v19
	v_mul_f16_e32 v18, 0x3a52, v20
	;; [unrolled: 1-line block ×6, first 2 shown]
	v_add_f16_e32 v8, v8, v13
	v_add_f16_e32 v17, v17, v15
	v_sub_f16_e32 v12, v0, v12
	v_sub_f16_e32 v5, v5, v0
	v_add_f16_e32 v0, v23, v0
	v_mul_f16_e32 v23, 0x3846, v25
	v_fma_f16 v9, v9, s5, v16
	v_fma_f16 v10, v10, s5, v18
	v_fma_f16 v19, v21, s11, -v19
	v_fma_f16 v20, v22, s11, -v20
	;; [unrolled: 1-line block ×4, first 2 shown]
	v_fma_f16 v22, v14, s3, v24
	v_fma_f16 v11, v11, s6, -v24
	v_fma_f16 v14, v14, s7, -v26
	v_fma_f16 v13, v13, s4, v8
	v_fma_f16 v15, v15, s4, v17
	;; [unrolled: 1-line block ×3, first 2 shown]
	v_add_f16_e32 v9, v9, v13
	v_add_f16_e32 v10, v10, v15
	;; [unrolled: 1-line block ×6, first 2 shown]
	v_fma_f16 v18, v3, s2, v22
	v_fma_f16 v11, v3, s2, v11
	;; [unrolled: 1-line block ×4, first 2 shown]
	v_add_f16_e32 v21, v3, v13
	v_sub_f16_e32 v13, v13, v3
	v_mov_b32_e32 v3, v1
	v_mul_f16_e32 v25, 0xbb00, v5
	v_lshlrev_b64 v[2:3], 2, v[2:3]
	v_fma_f16 v5, v5, s6, -v23
	v_fma_f16 v12, v12, s7, -v25
	v_fma_f16 v5, v0, s2, v5
	v_fma_f16 v0, v0, s2, v12
	v_add_co_u32_e32 v2, vcc, v4, v2
	v_sub_f16_e32 v22, v15, v0
	v_add_f16_e32 v15, v0, v15
	v_addc_co_u32_e32 v3, vcc, v6, v3, vcc
	v_pack_b32_f16 v0, v8, v17
	global_store_dword v[2:3], v0, off
	v_add_u32_e32 v0, 0x132, v7
	v_lshlrev_b64 v[2:3], 2, v[0:1]
	v_add_f16_e32 v12, v18, v9
	v_sub_f16_e32 v14, v10, v16
	v_add_co_u32_e32 v2, vcc, v4, v2
	v_addc_co_u32_e32 v3, vcc, v6, v3, vcc
	v_pack_b32_f16 v0, v12, v14
	global_store_dword v[2:3], v0, off
	v_add_u32_e32 v0, 0x1e6, v7
	v_lshlrev_b64 v[2:3], 2, v[0:1]
	v_pack_b32_f16 v0, v21, v22
	v_add_co_u32_e32 v2, vcc, v4, v2
	v_addc_co_u32_e32 v3, vcc, v6, v3, vcc
	global_store_dword v[2:3], v0, off
	v_add_u32_e32 v0, 0x29a, v7
	v_lshlrev_b64 v[2:3], 2, v[0:1]
	v_sub_f16_e32 v23, v19, v11
	v_add_f16_e32 v24, v5, v20
	v_add_co_u32_e32 v2, vcc, v4, v2
	v_addc_co_u32_e32 v3, vcc, v6, v3, vcc
	v_pack_b32_f16 v0, v23, v24
	global_store_dword v[2:3], v0, off
	v_add_u32_e32 v0, 0x34e, v7
	v_lshlrev_b64 v[2:3], 2, v[0:1]
	v_add_f16_e32 v11, v11, v19
	v_sub_f16_e32 v5, v20, v5
	v_add_co_u32_e32 v2, vcc, v4, v2
	v_addc_co_u32_e32 v3, vcc, v6, v3, vcc
	v_pack_b32_f16 v0, v11, v5
	global_store_dword v[2:3], v0, off
	v_add_u32_e32 v0, 0x402, v7
	v_lshlrev_b64 v[2:3], 2, v[0:1]
	v_pack_b32_f16 v0, v13, v15
	v_add_co_u32_e32 v2, vcc, v4, v2
	v_addc_co_u32_e32 v3, vcc, v6, v3, vcc
	global_store_dword v[2:3], v0, off
	v_add_u32_e32 v0, 0x4b6, v7
	v_lshlrev_b64 v[0:1], 2, v[0:1]
	v_sub_f16_e32 v9, v9, v18
	v_add_f16_e32 v10, v16, v10
	v_add_co_u32_e32 v0, vcc, v4, v0
	v_addc_co_u32_e32 v1, vcc, v6, v1, vcc
	v_pack_b32_f16 v2, v9, v10
	global_store_dword v[0:1], v2, off
.LBB0_36:
	s_endpgm
	.section	.rodata,"a",@progbits
	.p2align	6, 0x0
	.amdhsa_kernel fft_rtc_back_len1260_factors_2_2_3_3_5_7_wgs_63_tpt_63_halfLds_half_op_CI_CI_unitstride_sbrr_dirReg
		.amdhsa_group_segment_fixed_size 0
		.amdhsa_private_segment_fixed_size 0
		.amdhsa_kernarg_size 104
		.amdhsa_user_sgpr_count 6
		.amdhsa_user_sgpr_private_segment_buffer 1
		.amdhsa_user_sgpr_dispatch_ptr 0
		.amdhsa_user_sgpr_queue_ptr 0
		.amdhsa_user_sgpr_kernarg_segment_ptr 1
		.amdhsa_user_sgpr_dispatch_id 0
		.amdhsa_user_sgpr_flat_scratch_init 0
		.amdhsa_user_sgpr_private_segment_size 0
		.amdhsa_uses_dynamic_stack 0
		.amdhsa_system_sgpr_private_segment_wavefront_offset 0
		.amdhsa_system_sgpr_workgroup_id_x 1
		.amdhsa_system_sgpr_workgroup_id_y 0
		.amdhsa_system_sgpr_workgroup_id_z 0
		.amdhsa_system_sgpr_workgroup_info 0
		.amdhsa_system_vgpr_workitem_id 0
		.amdhsa_next_free_vgpr 83
		.amdhsa_next_free_sgpr 28
		.amdhsa_reserve_vcc 1
		.amdhsa_reserve_flat_scratch 0
		.amdhsa_float_round_mode_32 0
		.amdhsa_float_round_mode_16_64 0
		.amdhsa_float_denorm_mode_32 3
		.amdhsa_float_denorm_mode_16_64 3
		.amdhsa_dx10_clamp 1
		.amdhsa_ieee_mode 1
		.amdhsa_fp16_overflow 0
		.amdhsa_exception_fp_ieee_invalid_op 0
		.amdhsa_exception_fp_denorm_src 0
		.amdhsa_exception_fp_ieee_div_zero 0
		.amdhsa_exception_fp_ieee_overflow 0
		.amdhsa_exception_fp_ieee_underflow 0
		.amdhsa_exception_fp_ieee_inexact 0
		.amdhsa_exception_int_div_zero 0
	.end_amdhsa_kernel
	.text
.Lfunc_end0:
	.size	fft_rtc_back_len1260_factors_2_2_3_3_5_7_wgs_63_tpt_63_halfLds_half_op_CI_CI_unitstride_sbrr_dirReg, .Lfunc_end0-fft_rtc_back_len1260_factors_2_2_3_3_5_7_wgs_63_tpt_63_halfLds_half_op_CI_CI_unitstride_sbrr_dirReg
                                        ; -- End function
	.section	.AMDGPU.csdata,"",@progbits
; Kernel info:
; codeLenInByte = 14544
; NumSgprs: 32
; NumVgprs: 83
; ScratchSize: 0
; MemoryBound: 0
; FloatMode: 240
; IeeeMode: 1
; LDSByteSize: 0 bytes/workgroup (compile time only)
; SGPRBlocks: 3
; VGPRBlocks: 20
; NumSGPRsForWavesPerEU: 32
; NumVGPRsForWavesPerEU: 83
; Occupancy: 3
; WaveLimiterHint : 1
; COMPUTE_PGM_RSRC2:SCRATCH_EN: 0
; COMPUTE_PGM_RSRC2:USER_SGPR: 6
; COMPUTE_PGM_RSRC2:TRAP_HANDLER: 0
; COMPUTE_PGM_RSRC2:TGID_X_EN: 1
; COMPUTE_PGM_RSRC2:TGID_Y_EN: 0
; COMPUTE_PGM_RSRC2:TGID_Z_EN: 0
; COMPUTE_PGM_RSRC2:TIDIG_COMP_CNT: 0
	.type	__hip_cuid_e6a0ff2600d872ba,@object ; @__hip_cuid_e6a0ff2600d872ba
	.section	.bss,"aw",@nobits
	.globl	__hip_cuid_e6a0ff2600d872ba
__hip_cuid_e6a0ff2600d872ba:
	.byte	0                               ; 0x0
	.size	__hip_cuid_e6a0ff2600d872ba, 1

	.ident	"AMD clang version 19.0.0git (https://github.com/RadeonOpenCompute/llvm-project roc-6.4.0 25133 c7fe45cf4b819c5991fe208aaa96edf142730f1d)"
	.section	".note.GNU-stack","",@progbits
	.addrsig
	.addrsig_sym __hip_cuid_e6a0ff2600d872ba
	.amdgpu_metadata
---
amdhsa.kernels:
  - .args:
      - .actual_access:  read_only
        .address_space:  global
        .offset:         0
        .size:           8
        .value_kind:     global_buffer
      - .offset:         8
        .size:           8
        .value_kind:     by_value
      - .actual_access:  read_only
        .address_space:  global
        .offset:         16
        .size:           8
        .value_kind:     global_buffer
      - .actual_access:  read_only
        .address_space:  global
        .offset:         24
        .size:           8
        .value_kind:     global_buffer
      - .actual_access:  read_only
        .address_space:  global
        .offset:         32
        .size:           8
        .value_kind:     global_buffer
      - .offset:         40
        .size:           8
        .value_kind:     by_value
      - .actual_access:  read_only
        .address_space:  global
        .offset:         48
        .size:           8
        .value_kind:     global_buffer
      - .actual_access:  read_only
        .address_space:  global
        .offset:         56
        .size:           8
        .value_kind:     global_buffer
      - .offset:         64
        .size:           4
        .value_kind:     by_value
      - .actual_access:  read_only
        .address_space:  global
        .offset:         72
        .size:           8
        .value_kind:     global_buffer
      - .actual_access:  read_only
        .address_space:  global
        .offset:         80
        .size:           8
        .value_kind:     global_buffer
      - .actual_access:  read_only
        .address_space:  global
        .offset:         88
        .size:           8
        .value_kind:     global_buffer
      - .actual_access:  write_only
        .address_space:  global
        .offset:         96
        .size:           8
        .value_kind:     global_buffer
    .group_segment_fixed_size: 0
    .kernarg_segment_align: 8
    .kernarg_segment_size: 104
    .language:       OpenCL C
    .language_version:
      - 2
      - 0
    .max_flat_workgroup_size: 63
    .name:           fft_rtc_back_len1260_factors_2_2_3_3_5_7_wgs_63_tpt_63_halfLds_half_op_CI_CI_unitstride_sbrr_dirReg
    .private_segment_fixed_size: 0
    .sgpr_count:     32
    .sgpr_spill_count: 0
    .symbol:         fft_rtc_back_len1260_factors_2_2_3_3_5_7_wgs_63_tpt_63_halfLds_half_op_CI_CI_unitstride_sbrr_dirReg.kd
    .uniform_work_group_size: 1
    .uses_dynamic_stack: false
    .vgpr_count:     83
    .vgpr_spill_count: 0
    .wavefront_size: 64
amdhsa.target:   amdgcn-amd-amdhsa--gfx906
amdhsa.version:
  - 1
  - 2
...

	.end_amdgpu_metadata
